;; amdgpu-corpus repo=ROCm/rocFFT kind=compiled arch=gfx1030 opt=O3
	.text
	.amdgcn_target "amdgcn-amd-amdhsa--gfx1030"
	.amdhsa_code_object_version 6
	.protected	bluestein_single_back_len1859_dim1_half_op_CI_CI ; -- Begin function bluestein_single_back_len1859_dim1_half_op_CI_CI
	.globl	bluestein_single_back_len1859_dim1_half_op_CI_CI
	.p2align	8
	.type	bluestein_single_back_len1859_dim1_half_op_CI_CI,@function
bluestein_single_back_len1859_dim1_half_op_CI_CI: ; @bluestein_single_back_len1859_dim1_half_op_CI_CI
; %bb.0:
	s_load_dwordx4 s[0:3], s[4:5], 0x28
	v_mul_u32_u24_e32 v1, 0x184, v0
	v_mov_b32_e32 v21, 0
	v_lshrrev_b32_e32 v1, 16, v1
	v_add_nc_u32_e32 v20, s6, v1
	s_waitcnt lgkmcnt(0)
	v_cmp_gt_u64_e32 vcc_lo, s[0:1], v[20:21]
	s_and_saveexec_b32 s0, vcc_lo
	s_cbranch_execz .LBB0_23
; %bb.1:
	s_clause 0x1
	s_load_dwordx2 s[14:15], s[4:5], 0x0
	s_load_dwordx2 s[12:13], s[4:5], 0x38
	v_mul_lo_u16 v1, 0xa9, v1
	v_sub_nc_u16 v0, v0, v1
	v_and_b32_e32 v37, 0xffff, v0
	v_cmp_gt_u16_e32 vcc_lo, 0x8f, v0
	v_lshlrev_b32_e32 v36, 2, v37
	s_and_saveexec_b32 s1, vcc_lo
	s_cbranch_execz .LBB0_3
; %bb.2:
	s_load_dwordx2 s[6:7], s[4:5], 0x18
	s_waitcnt lgkmcnt(0)
	v_add_co_u32 v8, s0, s14, v36
	v_add_co_ci_u32_e64 v9, null, s15, 0, s0
	v_add_nc_u32_e32 v33, 0xc00, v36
	s_load_dwordx4 s[8:11], s[6:7], 0x0
	s_clause 0x3
	global_load_dword v10, v36, s[14:15]
	global_load_dword v11, v36, s[14:15] offset:572
	global_load_dword v12, v36, s[14:15] offset:1144
	;; [unrolled: 1-line block ×3, first 2 shown]
	s_waitcnt lgkmcnt(0)
	v_mad_u64_u32 v[0:1], null, s10, v20, 0
	v_mad_u64_u32 v[2:3], null, s8, v37, 0
	;; [unrolled: 1-line block ×4, first 2 shown]
	v_mov_b32_e32 v1, v4
	v_lshlrev_b64 v[0:1], 2, v[0:1]
	v_mov_b32_e32 v3, v5
	v_add_co_u32 v4, s0, s2, v0
	v_lshlrev_b64 v[2:3], 2, v[2:3]
	v_add_co_ci_u32_e64 v5, s0, s3, v1, s0
	v_add_co_u32 v0, s0, 0x800, v8
	v_add_co_ci_u32_e64 v1, s0, 0, v9, s0
	v_add_co_u32 v2, s0, v4, v2
	v_add_co_ci_u32_e64 v3, s0, v5, v3, s0
	s_mul_i32 s0, s9, 0x23c
	s_mul_hi_u32 s2, s8, 0x23c
	s_mul_i32 s3, s8, 0x23c
	s_add_i32 s2, s2, s0
	global_load_dword v14, v[2:3], off
	v_add_co_u32 v2, s0, v2, s3
	v_add_co_ci_u32_e64 v3, s0, s2, v3, s0
	v_add_co_u32 v4, s0, 0x1000, v8
	v_add_co_ci_u32_e64 v5, s0, 0, v9, s0
	;; [unrolled: 2-line block ×3, first 2 shown]
	s_clause 0x1
	global_load_dword v15, v[2:3], off
	global_load_dword v16, v[6:7], off
	v_add_co_u32 v2, s0, v6, s3
	v_add_co_ci_u32_e64 v3, s0, s2, v7, s0
	v_add_co_u32 v6, s0, v2, s3
	v_add_co_ci_u32_e64 v7, s0, s2, v3, s0
	global_load_dword v17, v[2:3], off
	v_add_co_u32 v2, s0, v6, s3
	v_add_co_ci_u32_e64 v3, s0, s2, v7, s0
	s_clause 0x3
	global_load_dword v18, v[0:1], off offset:240
	global_load_dword v19, v[0:1], off offset:812
	;; [unrolled: 1-line block ×4, first 2 shown]
	global_load_dword v6, v[6:7], off
	global_load_dword v7, v[2:3], off
	v_add_co_u32 v0, s0, v2, s3
	v_add_co_ci_u32_e64 v1, s0, s2, v3, s0
	s_clause 0x2
	global_load_dword v23, v[4:5], off offset:480
	global_load_dword v24, v[4:5], off offset:1052
	;; [unrolled: 1-line block ×3, first 2 shown]
	v_add_co_u32 v2, s0, v0, s3
	v_add_co_ci_u32_e64 v3, s0, s2, v1, s0
	global_load_dword v26, v[0:1], off
	v_add_co_u32 v0, s0, v2, s3
	v_add_co_ci_u32_e64 v1, s0, s2, v3, s0
	global_load_dword v27, v[2:3], off
	;; [unrolled: 3-line block ×5, first 2 shown]
	v_add_co_u32 v0, s0, v2, s3
	v_add_co_ci_u32_e64 v1, s0, s2, v3, s0
	v_add_co_u32 v4, s0, 0x1800, v8
	v_add_co_ci_u32_e64 v5, s0, 0, v9, s0
	global_load_dword v2, v[2:3], off
	global_load_dword v0, v[0:1], off
	s_clause 0x1
	global_load_dword v1, v[4:5], off offset:148
	global_load_dword v3, v[4:5], off offset:720
	v_add_nc_u32_e32 v5, 0x400, v36
	v_add_nc_u32_e32 v8, 0x800, v36
	s_waitcnt vmcnt(21)
	v_lshrrev_b32_e32 v4, 16, v14
	v_mul_f16_sdwa v9, v10, v14 dst_sel:DWORD dst_unused:UNUSED_PAD src0_sel:WORD_1 src1_sel:DWORD
	v_mul_f16_sdwa v31, v10, v4 dst_sel:DWORD dst_unused:UNUSED_PAD src0_sel:WORD_1 src1_sel:DWORD
	v_fma_f16 v4, v10, v4, -v9
	v_fmac_f16_e32 v31, v10, v14
	s_waitcnt vmcnt(20)
	v_lshrrev_b32_e32 v32, 16, v15
	v_mul_f16_sdwa v34, v11, v15 dst_sel:DWORD dst_unused:UNUSED_PAD src0_sel:WORD_1 src1_sel:DWORD
	v_pack_b32_f16 v4, v31, v4
	s_waitcnt vmcnt(19)
	v_lshrrev_b32_e32 v10, 16, v16
	v_mul_f16_sdwa v9, v11, v32 dst_sel:DWORD dst_unused:UNUSED_PAD src0_sel:WORD_1 src1_sel:DWORD
	v_fma_f16 v14, v11, v32, -v34
	v_mul_f16_sdwa v32, v12, v16 dst_sel:DWORD dst_unused:UNUSED_PAD src0_sel:WORD_1 src1_sel:DWORD
	v_fmac_f16_e32 v9, v11, v15
	v_mul_f16_sdwa v11, v12, v10 dst_sel:DWORD dst_unused:UNUSED_PAD src0_sel:WORD_1 src1_sel:DWORD
	v_fma_f16 v10, v12, v10, -v32
	s_waitcnt vmcnt(18)
	v_lshrrev_b32_e32 v15, 16, v17
	v_mul_f16_sdwa v31, v13, v17 dst_sel:DWORD dst_unused:UNUSED_PAD src0_sel:WORD_1 src1_sel:DWORD
	v_pack_b32_f16 v9, v9, v14
	v_fmac_f16_e32 v11, v12, v16
	s_waitcnt vmcnt(13)
	v_mul_f16_sdwa v16, v18, v6 dst_sel:DWORD dst_unused:UNUSED_PAD src0_sel:WORD_1 src1_sel:DWORD
	v_mul_f16_sdwa v12, v13, v15 dst_sel:DWORD dst_unused:UNUSED_PAD src0_sel:WORD_1 src1_sel:DWORD
	v_fma_f16 v14, v13, v15, -v31
	v_lshrrev_b32_e32 v15, 16, v6
	ds_write2_b32 v36, v4, v9 offset1:143
	v_pack_b32_f16 v4, v11, v10
	s_waitcnt vmcnt(12)
	v_lshrrev_b32_e32 v10, 16, v7
	v_fmac_f16_e32 v12, v13, v17
	v_mul_f16_sdwa v9, v18, v15 dst_sel:DWORD dst_unused:UNUSED_PAD src0_sel:WORD_1 src1_sel:DWORD
	v_mul_f16_sdwa v11, v19, v7 dst_sel:DWORD dst_unused:UNUSED_PAD src0_sel:WORD_1 src1_sel:DWORD
	v_fma_f16 v13, v18, v15, -v16
	v_pack_b32_f16 v12, v12, v14
	v_fmac_f16_e32 v9, v18, v6
	v_mul_f16_sdwa v6, v19, v10 dst_sel:DWORD dst_unused:UNUSED_PAD src0_sel:WORD_1 src1_sel:DWORD
	v_fma_f16 v10, v19, v10, -v11
	s_waitcnt vmcnt(8)
	v_lshrrev_b32_e32 v11, 16, v26
	v_mul_f16_sdwa v14, v21, v26 dst_sel:DWORD dst_unused:UNUSED_PAD src0_sel:WORD_1 src1_sel:DWORD
	ds_write2_b32 v5, v4, v12 offset0:30 offset1:173
	v_fmac_f16_e32 v6, v19, v7
	s_waitcnt vmcnt(7)
	v_lshrrev_b32_e32 v7, 16, v27
	v_pack_b32_f16 v4, v9, v13
	v_mul_f16_sdwa v5, v21, v11 dst_sel:DWORD dst_unused:UNUSED_PAD src0_sel:WORD_1 src1_sel:DWORD
	v_fma_f16 v9, v21, v11, -v14
	v_mul_f16_sdwa v11, v22, v27 dst_sel:DWORD dst_unused:UNUSED_PAD src0_sel:WORD_1 src1_sel:DWORD
	v_pack_b32_f16 v6, v6, v10
	v_mul_f16_sdwa v10, v22, v7 dst_sel:DWORD dst_unused:UNUSED_PAD src0_sel:WORD_1 src1_sel:DWORD
	v_fmac_f16_e32 v5, v21, v26
	s_waitcnt vmcnt(6)
	v_lshrrev_b32_e32 v12, 16, v28
	v_fma_f16 v7, v22, v7, -v11
	v_mul_f16_sdwa v11, v23, v28 dst_sel:DWORD dst_unused:UNUSED_PAD src0_sel:WORD_1 src1_sel:DWORD
	v_fmac_f16_e32 v10, v22, v27
	s_waitcnt vmcnt(5)
	v_lshrrev_b32_e32 v13, 16, v29
	v_pack_b32_f16 v5, v5, v9
	v_mul_f16_sdwa v9, v23, v12 dst_sel:DWORD dst_unused:UNUSED_PAD src0_sel:WORD_1 src1_sel:DWORD
	v_fma_f16 v11, v23, v12, -v11
	v_mul_f16_sdwa v12, v24, v29 dst_sel:DWORD dst_unused:UNUSED_PAD src0_sel:WORD_1 src1_sel:DWORD
	v_pack_b32_f16 v7, v10, v7
	v_mul_f16_sdwa v10, v24, v13 dst_sel:DWORD dst_unused:UNUSED_PAD src0_sel:WORD_1 src1_sel:DWORD
	v_fmac_f16_e32 v9, v23, v28
	s_waitcnt vmcnt(4)
	v_lshrrev_b32_e32 v14, 16, v30
	v_fma_f16 v12, v24, v13, -v12
	v_mul_f16_sdwa v13, v25, v30 dst_sel:DWORD dst_unused:UNUSED_PAD src0_sel:WORD_1 src1_sel:DWORD
	v_fmac_f16_e32 v10, v24, v29
	s_waitcnt vmcnt(3)
	v_lshrrev_b32_e32 v15, 16, v2
	s_waitcnt vmcnt(2)
	v_lshrrev_b32_e32 v16, 16, v0
	v_pack_b32_f16 v9, v9, v11
	v_mul_f16_sdwa v11, v25, v14 dst_sel:DWORD dst_unused:UNUSED_PAD src0_sel:WORD_1 src1_sel:DWORD
	v_fma_f16 v13, v25, v14, -v13
	s_waitcnt vmcnt(1)
	v_mul_f16_sdwa v14, v1, v2 dst_sel:DWORD dst_unused:UNUSED_PAD src0_sel:WORD_1 src1_sel:DWORD
	v_pack_b32_f16 v10, v10, v12
	v_mul_f16_sdwa v12, v1, v15 dst_sel:DWORD dst_unused:UNUSED_PAD src0_sel:WORD_1 src1_sel:DWORD
	s_waitcnt vmcnt(0)
	v_mul_f16_sdwa v17, v3, v16 dst_sel:DWORD dst_unused:UNUSED_PAD src0_sel:WORD_1 src1_sel:DWORD
	v_mul_f16_sdwa v18, v3, v0 dst_sel:DWORD dst_unused:UNUSED_PAD src0_sel:WORD_1 src1_sel:DWORD
	v_fmac_f16_e32 v11, v25, v30
	v_fma_f16 v14, v1, v15, -v14
	v_fmac_f16_e32 v12, v1, v2
	v_fmac_f16_e32 v17, v3, v0
	v_fma_f16 v0, v3, v16, -v18
	v_add_nc_u32_e32 v1, 0x1100, v36
	v_pack_b32_f16 v2, v11, v13
	v_pack_b32_f16 v3, v12, v14
	v_add_nc_u32_e32 v11, 0x1600, v36
	v_pack_b32_f16 v0, v17, v0
	ds_write2_b32 v8, v4, v6 offset0:60 offset1:203
	ds_write2_b32 v33, v5, v7 offset0:90 offset1:233
	;; [unrolled: 1-line block ×4, first 2 shown]
	ds_write_b32 v36, v0 offset:6864
.LBB0_3:
	s_or_b32 exec_lo, exec_lo, s1
	s_clause 0x1
	s_load_dwordx2 s[2:3], s[4:5], 0x20
	s_load_dwordx2 s[0:1], s[4:5], 0x8
	s_waitcnt lgkmcnt(0)
	s_barrier
	buffer_gl0_inv
                                        ; implicit-def: $vgpr0
                                        ; implicit-def: $vgpr7
                                        ; implicit-def: $vgpr18
                                        ; implicit-def: $vgpr4
                                        ; implicit-def: $vgpr17
                                        ; implicit-def: $vgpr16
                                        ; implicit-def: $vgpr2
                                        ; implicit-def: $vgpr15
                                        ; implicit-def: $vgpr14
                                        ; implicit-def: $vgpr12
                                        ; implicit-def: $vgpr13
                                        ; implicit-def: $vgpr19
                                        ; implicit-def: $vgpr9
                                        ; implicit-def: $vgpr21
                                        ; implicit-def: $vgpr22
                                        ; implicit-def: $vgpr11
                                        ; implicit-def: $vgpr23
                                        ; implicit-def: $vgpr25
                                        ; implicit-def: $vgpr26
	s_and_saveexec_b32 s4, vcc_lo
	s_cbranch_execz .LBB0_5
; %bb.4:
	v_add_nc_u32_e32 v2, 0x400, v36
	v_add_nc_u32_e32 v3, 0x800, v36
	;; [unrolled: 1-line block ×3, first 2 shown]
	ds_read2_b32 v[0:1], v36 offset1:143
	ds_read2_b32 v[10:11], v2 offset0:30 offset1:173
	v_add_nc_u32_e32 v2, 0x1100, v36
	ds_read2_b32 v[8:9], v3 offset0:60 offset1:203
	v_add_nc_u32_e32 v3, 0x1600, v36
	ds_read2_b32 v[6:7], v4 offset0:90 offset1:233
	ds_read2_b32 v[4:5], v2 offset0:56 offset1:199
	ds_read2_b32 v[2:3], v3 offset0:22 offset1:165
	ds_read_b32 v12, v36 offset:6864
	s_waitcnt lgkmcnt(6)
	v_lshrrev_b32_e32 v26, 16, v1
	s_waitcnt lgkmcnt(5)
	v_lshrrev_b32_e32 v25, 16, v10
	v_lshrrev_b32_e32 v23, 16, v11
	s_waitcnt lgkmcnt(4)
	v_lshrrev_b32_e32 v22, 16, v8
	;; [unrolled: 3-line block ×6, first 2 shown]
.LBB0_5:
	s_or_b32 exec_lo, exec_lo, s4
	v_sub_f16_e32 v75, v1, v12
	v_sub_f16_e32 v64, v26, v13
	v_add_f16_e32 v29, v13, v26
	v_add_f16_e32 v27, v12, v1
	v_sub_f16_e32 v76, v10, v3
	v_mul_f16_e32 v49, 0xb770, v75
	v_mul_f16_e32 v45, 0xb770, v64
	v_mul_f16_e32 v56, 0xba95, v64
	v_sub_f16_e32 v67, v25, v14
	v_add_f16_e32 v28, v3, v10
	v_fma_f16 v30, v29, 0x3b15, -v49
	v_fmamk_f16 v24, v27, 0x3b15, v45
	v_mul_f16_e32 v63, 0xba95, v75
	v_fmamk_f16 v31, v27, 0x388b, v56
	v_mul_f16_e32 v46, 0xba95, v67
	v_add_f16_sdwa v32, v30, v0 dst_sel:DWORD dst_unused:UNUSED_PAD src0_sel:DWORD src1_sel:WORD_1
	v_add_f16_e32 v30, v14, v25
	v_mul_f16_e32 v51, 0xba95, v76
	v_mul_f16_e32 v57, 0xbb7b, v67
	v_add_f16_e32 v24, v24, v0
	v_fma_f16 v33, v29, 0x388b, -v63
	v_fmamk_f16 v34, v28, 0x388b, v46
	v_add_f16_e32 v31, v31, v0
	v_fma_f16 v35, v30, 0x388b, -v51
	v_fmamk_f16 v38, v28, 0xb5ac, v57
	v_mul_f16_e32 v68, 0xbb7b, v76
	v_sub_f16_e32 v70, v23, v15
	v_sub_f16_e32 v79, v11, v2
	v_add_f16_sdwa v33, v33, v0 dst_sel:DWORD dst_unused:UNUSED_PAD src0_sel:DWORD src1_sel:WORD_1
	v_add_f16_e32 v24, v34, v24
	v_add_f16_e32 v35, v35, v32
	;; [unrolled: 1-line block ×3, first 2 shown]
	v_fma_f16 v34, v30, 0xb5ac, -v68
	v_add_f16_e32 v31, v2, v11
	v_mul_f16_e32 v50, 0xbbf1, v70
	v_add_f16_e32 v32, v15, v23
	v_mul_f16_e32 v52, 0xbbf1, v79
	v_sub_f16_e32 v71, v22, v16
	v_sub_f16_e32 v80, v8, v5
	v_add_f16_e32 v39, v34, v33
	v_mul_f16_e32 v62, 0xb3a8, v70
	v_fmamk_f16 v40, v31, 0x2fb7, v50
	v_fma_f16 v41, v32, 0x2fb7, -v52
	v_mul_f16_e32 v73, 0xb3a8, v79
	v_add_f16_e32 v33, v5, v8
	v_mul_f16_e32 v53, 0xbb7b, v71
	v_add_f16_e32 v34, v16, v22
	v_mul_f16_e32 v55, 0xbb7b, v80
	v_fmamk_f16 v42, v31, 0xbbc4, v62
	v_add_f16_e32 v24, v40, v24
	v_add_f16_e32 v35, v41, v35
	v_fma_f16 v40, v32, 0xbbc4, -v73
	v_fmamk_f16 v41, v33, 0xb5ac, v53
	v_fma_f16 v43, v34, 0xb5ac, -v55
	v_mul_f16_e32 v66, 0x394e, v71
	v_sub_f16_e32 v74, v21, v17
	v_sub_f16_e32 v81, v9, v4
	v_mul_f16_e32 v77, 0x394e, v80
	v_add_f16_e32 v38, v42, v38
	v_add_f16_e32 v40, v40, v39
	;; [unrolled: 1-line block ×4, first 2 shown]
	v_fmamk_f16 v41, v33, 0xb9fd, v66
	v_add_f16_e32 v39, v4, v9
	v_mul_f16_e32 v54, 0xb94e, v74
	v_add_f16_e32 v42, v17, v21
	v_mul_f16_e32 v60, 0xb94e, v81
	v_fma_f16 v43, v34, 0xb9fd, -v77
	v_mul_f16_e32 v65, 0x3bf1, v74
	v_fmamk_f16 v44, v39, 0xb9fd, v54
	v_add_f16_e32 v38, v41, v38
	v_fma_f16 v41, v42, 0xb9fd, -v60
	v_add_f16_e32 v40, v43, v40
	v_fmamk_f16 v43, v39, 0x2fb7, v65
	v_mul_f16_e32 v78, 0x3bf1, v81
	v_sub_f16_e32 v58, v19, v18
	v_sub_f16_e32 v82, v6, v7
	v_add_f16_e32 v24, v44, v24
	v_add_f16_e32 v41, v41, v35
	;; [unrolled: 1-line block ×3, first 2 shown]
	v_fma_f16 v35, v42, 0x2fb7, -v78
	v_add_f16_e32 v43, v7, v6
	v_mul_f16_e32 v59, 0xb3a8, v58
	v_add_f16_e32 v44, v18, v19
	v_mul_f16_e32 v61, 0xb3a8, v82
	v_mul_f16_e32 v72, 0x3770, v82
	;; [unrolled: 1-line block ×3, first 2 shown]
	v_add_f16_e32 v40, v35, v40
	v_fmamk_f16 v35, v43, 0xbbc4, v59
	v_fma_f16 v47, v44, 0xbbc4, -v61
	v_fma_f16 v48, v44, 0x3b15, -v72
	v_fmamk_f16 v83, v43, 0x3b15, v69
	v_add_f16_e32 v35, v35, v24
	v_add_f16_e32 v41, v47, v41
	;; [unrolled: 1-line block ×4, first 2 shown]
	v_mul_lo_u16 v38, v37, 13
	s_barrier
	buffer_gl0_inv
	s_and_saveexec_b32 s4, vcc_lo
	s_cbranch_execz .LBB0_7
; %bb.6:
	v_mul_f16_e32 v83, 0xb3a8, v75
	v_mul_f16_e32 v84, 0xb3a8, v64
	;; [unrolled: 1-line block ×5, first 2 shown]
	v_fmamk_f16 v47, v29, 0xbbc4, v83
	v_fma_f16 v48, v27, 0xbbc4, -v84
	v_fmamk_f16 v90, v30, 0x3b15, v85
	v_mul_f16_e32 v88, 0xb94e, v70
	v_mul_f16_e32 v89, 0x3a95, v80
	v_add_f16_sdwa v47, v47, v0 dst_sel:DWORD dst_unused:UNUSED_PAD src0_sel:DWORD src1_sel:WORD_1
	v_fma_f16 v91, v28, 0x3b15, -v87
	v_add_f16_e32 v48, v48, v0
	v_fmamk_f16 v93, v32, 0xb9fd, v86
	v_mul_f16_e32 v94, 0xb94e, v75
	v_add_f16_e32 v47, v90, v47
	v_mul_f16_e32 v92, 0x3a95, v71
	v_fma_f16 v90, v31, 0xb9fd, -v88
	v_add_f16_e32 v48, v91, v48
	v_mul_f16_e32 v91, 0xbb7b, v81
	v_add_f16_e32 v47, v93, v47
	v_fmamk_f16 v93, v34, 0x388b, v89
	v_fmamk_f16 v95, v29, 0xb9fd, v94
	v_mul_f16_e32 v96, 0x3bf1, v76
	v_add_f16_e32 v48, v90, v48
	v_fma_f16 v90, v33, 0x388b, -v92
	v_add_f16_e32 v47, v93, v47
	v_fmamk_f16 v93, v42, 0xb5ac, v91
	v_mul_f16_e32 v97, 0xbb7b, v74
	v_add_f16_sdwa v95, v95, v0 dst_sel:DWORD dst_unused:UNUSED_PAD src0_sel:DWORD src1_sel:WORD_1
	v_fmamk_f16 v98, v30, 0x2fb7, v96
	v_mul_f16_e32 v99, 0xba95, v79
	v_add_f16_e32 v48, v90, v48
	v_fma_f16 v90, v39, 0xb5ac, -v97
	v_add_f16_e32 v47, v93, v47
	v_add_f16_e32 v93, v98, v95
	v_fmamk_f16 v95, v32, 0x388b, v99
	v_mul_f16_e32 v98, 0x33a8, v80
	v_add_f16_e32 v48, v90, v48
	v_mul_f16_e32 v90, 0x3bf1, v82
	v_mul_f16_e32 v101, 0x3770, v81
	v_add_f16_e32 v93, v95, v93
	v_fmamk_f16 v95, v34, 0xbbc4, v98
	v_mul_f16_e32 v100, 0x3bf1, v58
	v_fmamk_f16 v102, v44, 0x2fb7, v90
	v_mul_f16_e32 v103, 0xb94e, v64
	v_mul_f16_e32 v105, 0x3bf1, v67
	v_add_f16_e32 v93, v95, v93
	v_fmamk_f16 v95, v42, 0x3b15, v101
	v_fma_f16 v104, v43, 0x2fb7, -v100
	v_add_f16_e32 v47, v102, v47
	v_fma_f16 v102, v27, 0xb9fd, -v103
	v_mul_f16_e32 v106, 0xba95, v70
	v_add_f16_e32 v93, v95, v93
	v_mul_f16_e32 v95, 0xbb7b, v75
	v_add_f16_e32 v48, v104, v48
	v_add_f16_e32 v102, v102, v0
	v_fma_f16 v104, v28, 0x2fb7, -v105
	v_mul_f16_e32 v107, 0xbb7b, v82
	v_fmamk_f16 v108, v29, 0xb5ac, v95
	v_mul_f16_e32 v109, 0x394e, v76
	v_mul_f16_e32 v110, 0x33a8, v71
	v_add_f16_e32 v102, v104, v102
	v_fma_f16 v104, v31, 0x388b, -v106
	v_add_f16_sdwa v108, v108, v0 dst_sel:DWORD dst_unused:UNUSED_PAD src0_sel:DWORD src1_sel:WORD_1
	v_fmamk_f16 v111, v30, 0xb9fd, v109
	v_mul_f16_e32 v112, 0x3770, v79
	v_fmamk_f16 v113, v44, 0xb5ac, v107
	v_add_f16_e32 v102, v104, v102
	v_fma_f16 v104, v33, 0xbbc4, -v110
	v_add_f16_e32 v108, v111, v108
	v_fmamk_f16 v111, v32, 0x3b15, v112
	v_mul_f16_e32 v114, 0xbbf1, v80
	v_add_f16_e32 v93, v113, v93
	v_mul_f16_e32 v113, 0x3770, v74
	v_add_f16_e32 v102, v104, v102
	v_add_f16_e32 v104, v111, v108
	v_fmamk_f16 v108, v34, 0x2fb7, v114
	v_mul_f16_e32 v111, 0x33a8, v81
	v_fma_f16 v115, v39, 0x3b15, -v113
	v_mul_f16_e32 v116, 0xbb7b, v64
	v_mul_f16_e32 v118, 0x394e, v67
	v_add_f16_e32 v104, v108, v104
	v_fmamk_f16 v108, v42, 0xbbc4, v111
	v_add_f16_e32 v102, v115, v102
	v_fma_f16 v115, v27, 0xb5ac, -v116
	v_mul_f16_e32 v75, 0xbbf1, v75
	v_mul_f16_e32 v120, 0x3770, v70
	v_add_f16_e32 v104, v108, v104
	v_mul_f16_e32 v76, 0xb3a8, v76
	v_add_f16_e32 v108, v115, v0
	v_fma_f16 v115, v28, 0xb9fd, -v118
	v_fmamk_f16 v122, v29, 0x2fb7, v75
	v_mul_f16_e32 v123, 0xbbf1, v71
	v_fmamk_f16 v124, v30, 0xbbc4, v76
	v_mul_f16_e32 v79, 0x3b7b, v79
	v_add_f16_e32 v108, v115, v108
	v_fma_f16 v115, v31, 0x3b15, -v120
	v_add_f16_sdwa v122, v122, v0 dst_sel:DWORD dst_unused:UNUSED_PAD src0_sel:DWORD src1_sel:WORD_1
	v_mul_f16_e32 v117, 0xbb7b, v58
	v_mul_f16_e32 v125, 0x33a8, v74
	;; [unrolled: 1-line block ×3, first 2 shown]
	v_add_f16_e32 v108, v115, v108
	v_fma_f16 v115, v33, 0x2fb7, -v123
	v_add_f16_e32 v122, v124, v122
	v_fmamk_f16 v124, v32, 0xb5ac, v79
	v_fma_f16 v119, v43, 0xb5ac, -v117
	v_mul_f16_e32 v126, 0x3a95, v58
	v_add_f16_e32 v108, v115, v108
	v_fma_f16 v115, v39, 0xbbc4, -v125
	v_add_f16_e32 v122, v124, v122
	v_fmamk_f16 v124, v34, 0x3b15, v80
	v_mul_f16_e32 v81, 0xba95, v81
	v_add_f16_e32 v102, v119, v102
	v_add_f16_e32 v108, v115, v108
	v_fma_f16 v115, v43, 0x388b, -v126
	v_add_f16_e32 v122, v124, v122
	v_fmamk_f16 v124, v42, 0x388b, v81
	v_mul_f16_e32 v64, 0xbbf1, v64
	v_mul_f16_e32 v119, 0x388b, v29
	v_add_f16_e32 v108, v115, v108
	v_mul_f16_e32 v67, 0xb3a8, v67
	v_add_f16_e32 v115, v124, v122
	v_fma_f16 v122, v27, 0x2fb7, -v64
	v_mul_f16_e32 v124, 0xb5ac, v30
	v_add_f16_e32 v63, v63, v119
	v_mul_f16_e32 v70, 0x3b7b, v70
	v_mul_f16_e32 v71, 0x3770, v71
	v_add_f16_e32 v119, v122, v0
	v_fma_f16 v122, v28, 0xbbc4, -v67
	v_add_f16_e32 v68, v68, v124
	v_add_f16_sdwa v63, v63, v0 dst_sel:DWORD dst_unused:UNUSED_PAD src0_sel:DWORD src1_sel:WORD_1
	v_mul_f16_e32 v124, 0xbbc4, v32
	v_fmac_f16_e32 v84, 0xbbc4, v27
	v_add_f16_e32 v119, v122, v119
	v_fma_f16 v122, v31, 0xb5ac, -v70
	v_add_f16_e32 v63, v68, v63
	v_add_f16_e32 v68, v73, v124
	v_mul_f16_e32 v73, 0x388b, v27
	v_mul_f16_e32 v124, 0xb5ac, v28
	v_add_f16_e32 v119, v122, v119
	v_mul_f16_e32 v122, 0xb9fd, v34
	v_add_f16_e32 v63, v68, v63
	v_sub_f16_e32 v56, v73, v56
	v_sub_f16_e32 v57, v124, v57
	v_fma_f16 v73, v33, 0x3b15, -v71
	v_add_f16_e32 v68, v77, v122
	v_mul_f16_e32 v77, 0xbbc4, v31
	v_add_f16_e32 v56, v56, v0
	v_fmac_f16_e32 v87, 0x3b15, v28
	v_add_f16_e32 v73, v73, v119
	v_mul_f16_e32 v119, 0x2fb7, v42
	v_sub_f16_e32 v62, v77, v62
	v_add_f16_e32 v56, v57, v56
	v_mul_f16_e32 v57, 0xba95, v74
	v_mul_f16_e32 v74, 0x3b15, v29
	;; [unrolled: 1-line block ×3, first 2 shown]
	v_add_f16_e32 v63, v68, v63
	v_add_f16_e32 v56, v62, v56
	v_mul_f16_e32 v62, 0x388b, v30
	v_add_f16_e32 v49, v49, v74
	v_sub_f16_e32 v66, v77, v66
	v_add_f16_e32 v68, v78, v119
	v_fmac_f16_e32 v103, 0xb9fd, v27
	v_add_f16_e32 v51, v51, v62
	v_add_f16_sdwa v49, v49, v0 dst_sel:DWORD dst_unused:UNUSED_PAD src0_sel:DWORD src1_sel:WORD_1
	v_mul_f16_e32 v62, 0x2fb7, v32
	v_add_f16_e32 v56, v66, v56
	v_mul_f16_e32 v66, 0x3b15, v27
	v_add_f16_e32 v63, v68, v63
	;; [unrolled: 2-line block ×3, first 2 shown]
	v_add_f16_e32 v51, v52, v62
	v_mul_f16_e32 v52, 0x388b, v28
	v_sub_f16_e32 v45, v66, v45
	v_sub_f16_e32 v62, v68, v65
	v_mul_f16_e32 v65, 0xb5ac, v34
	v_add_f16_e32 v49, v51, v49
	v_sub_f16_e32 v46, v52, v46
	v_add_f16_e32 v45, v45, v0
	v_mul_f16_e32 v51, 0x2fb7, v31
	v_add_f16_e32 v52, v55, v65
	v_fmac_f16_e32 v105, 0x2fb7, v28
	v_fma_f16 v78, v39, 0x388b, -v57
	v_add_f16_e32 v45, v46, v45
	v_mul_f16_e32 v46, 0xb9fd, v42
	v_sub_f16_e32 v50, v51, v50
	v_mul_f16_e32 v51, 0xb5ac, v33
	v_add_f16_e32 v49, v52, v49
	v_mul_f16_e32 v52, 0x3b15, v43
	v_add_f16_e32 v46, v60, v46
	v_add_f16_e32 v45, v50, v45
	v_sub_f16_e32 v50, v51, v53
	v_add_f16_e32 v51, v62, v56
	v_mul_f16_e32 v56, 0xb94e, v58
	v_add_f16_e32 v46, v46, v49
	v_fma_f16 v49, v29, 0xbbc4, -v83
	v_add_f16_e32 v45, v50, v45
	v_mul_f16_e32 v50, 0xb9fd, v39
	v_fma_f16 v58, v30, 0x3b15, -v85
	v_sub_f16_e32 v52, v52, v69
	v_add_f16_sdwa v49, v49, v0 dst_sel:DWORD dst_unused:UNUSED_PAD src0_sel:DWORD src1_sel:WORD_1
	v_mul_f16_e32 v53, 0xbbc4, v44
	v_sub_f16_e32 v50, v50, v54
	v_mul_f16_e32 v54, 0xbbc4, v43
	v_add_f16_e32 v51, v52, v51
	v_add_f16_e32 v49, v58, v49
	v_fma_f16 v58, v32, 0xb9fd, -v86
	v_add_f16_e32 v45, v50, v45
	v_sub_f16_e32 v50, v54, v59
	v_add_f16_e32 v52, v84, v0
	v_add_f16_e32 v53, v61, v53
	;; [unrolled: 1-line block ×3, first 2 shown]
	v_fma_f16 v58, v34, 0x388b, -v89
	v_add_f16_e32 v45, v50, v45
	v_add_f16_e32 v50, v87, v52
	v_fma_f16 v52, v29, 0xb9fd, -v94
	v_add_f16_e32 v59, v103, v0
	v_add_f16_e32 v49, v58, v49
	v_fma_f16 v58, v42, 0xb5ac, -v91
	v_add_f16_e32 v46, v53, v46
	v_add_f16_sdwa v52, v52, v0 dst_sel:DWORD dst_unused:UNUSED_PAD src0_sel:DWORD src1_sel:WORD_1
	v_fma_f16 v53, v44, 0x2fb7, -v90
	v_add_f16_e32 v59, v105, v59
	v_add_f16_e32 v49, v58, v49
	v_fma_f16 v58, v30, 0x2fb7, -v96
	v_fmac_f16_e32 v106, 0x388b, v31
	v_add_f16_e32 v73, v78, v73
	v_fma_f16 v60, v43, 0xb9fd, -v56
	v_add_f16_e32 v49, v53, v49
	v_add_f16_e32 v52, v58, v52
	v_fma_f16 v58, v32, 0x388b, -v99
	v_fma_f16 v53, v34, 0xbbc4, -v98
	v_fmac_f16_e32 v110, 0xbbc4, v33
	v_add_f16_e32 v54, v60, v73
	v_fmac_f16_e32 v113, 0x3b15, v39
	v_add_f16_e32 v52, v58, v52
	v_add_f16_e32 v58, v106, v59
	v_fma_f16 v59, v29, 0xb5ac, -v95
	v_fma_f16 v60, v30, 0xb9fd, -v109
	v_add_f16_sdwa v26, v26, v0 dst_sel:DWORD dst_unused:UNUSED_PAD src0_sel:DWORD src1_sel:WORD_1
	v_add_f16_e32 v52, v53, v52
	v_fma_f16 v53, v42, 0x3b15, -v101
	v_add_f16_e32 v58, v110, v58
	v_add_f16_sdwa v59, v59, v0 dst_sel:DWORD dst_unused:UNUSED_PAD src0_sel:DWORD src1_sel:WORD_1
	v_add_f16_e32 v1, v1, v0
	v_fmac_f16_e32 v117, 0xb5ac, v43
	v_add_f16_e32 v52, v53, v52
	v_fma_f16 v53, v44, 0xb5ac, -v107
	v_add_f16_e32 v58, v113, v58
	v_add_f16_e32 v59, v60, v59
	v_fma_f16 v60, v32, 0x3b15, -v112
	v_fmac_f16_e32 v116, 0xb5ac, v27
	v_add_f16_e32 v25, v25, v26
	v_add_f16_e32 v1, v10, v1
	v_add_f16_e32 v52, v53, v52
	v_add_f16_e32 v53, v117, v58
	v_add_f16_e32 v58, v60, v59
	v_fma_f16 v59, v34, 0x2fb7, -v114
	v_add_f16_e32 v60, v116, v0
	v_fmac_f16_e32 v118, 0xb9fd, v28
	v_add_f16_e32 v23, v23, v25
	v_add_f16_e32 v1, v11, v1
	v_mul_f16_e32 v121, 0x3a95, v82
	v_add_f16_e32 v58, v59, v58
	v_fma_f16 v59, v42, 0xbbc4, -v111
	v_add_f16_e32 v10, v118, v60
	v_fmac_f16_e32 v120, 0x3b15, v31
	v_add_f16_e32 v22, v22, v23
	v_add_f16_e32 v1, v8, v1
	v_add_f16_e32 v26, v59, v58
	v_fma_f16 v11, v44, 0x388b, -v121
	v_add_f16_e32 v10, v120, v10
	v_fmac_f16_e32 v123, 0x2fb7, v33
	v_add_f16_e32 v21, v21, v22
	v_add_f16_e32 v1, v9, v1
	;; [unrolled: 6-line block ×3, first 2 shown]
	v_add_f16_sdwa v9, v11, v0 dst_sel:DWORD dst_unused:UNUSED_PAD src0_sel:DWORD src1_sel:WORD_1
	v_fma_f16 v11, v30, 0xbbc4, -v76
	v_add_f16_e32 v6, v125, v10
	v_add_f16_e32 v10, v18, v19
	;; [unrolled: 1-line block ×3, first 2 shown]
	v_fmac_f16_e32 v64, 0x2fb7, v27
	v_add_f16_e32 v9, v11, v9
	v_fma_f16 v7, v32, 0xb5ac, -v79
	v_add_f16_e32 v10, v17, v10
	v_add_f16_e32 v1, v4, v1
	;; [unrolled: 1-line block ×3, first 2 shown]
	v_fmac_f16_e32 v67, 0xbbc4, v28
	v_add_f16_e32 v4, v7, v9
	v_fma_f16 v7, v34, 0x3b15, -v80
	v_add_f16_e32 v9, v16, v10
	v_add_f16_e32 v1, v5, v1
	v_fmac_f16_e32 v88, 0xb9fd, v31
	v_add_f16_e32 v0, v67, v0
	v_fmac_f16_e32 v70, 0xb5ac, v31
	v_add_f16_e32 v4, v7, v4
	v_add_f16_e32 v7, v15, v9
	;; [unrolled: 1-line block ×3, first 2 shown]
	v_mul_f16_e32 v66, 0x3b15, v44
	v_add_f16_e32 v50, v88, v50
	v_fmac_f16_e32 v92, 0x388b, v33
	v_add_f16_e32 v0, v70, v0
	v_fmac_f16_e32 v71, 0x3b15, v33
	v_fmamk_f16 v127, v44, 0x388b, v121
	v_mul_f16_e32 v82, 0xb94e, v82
	v_fma_f16 v5, v42, 0x388b, -v81
	v_add_f16_e32 v2, v14, v7
	v_add_f16_e32 v1, v3, v1
	;; [unrolled: 1-line block ×4, first 2 shown]
	v_fmac_f16_e32 v97, 0xb5ac, v39
	v_add_f16_e32 v0, v71, v0
	v_fmac_f16_e32 v57, 0x388b, v39
	v_add_f16_e32 v104, v127, v104
	v_fmamk_f16 v127, v44, 0xb9fd, v82
	v_add_f16_e32 v3, v5, v4
	v_add_f16_sdwa v2, v13, v2 dst_sel:WORD_1 dst_unused:UNUSED_PAD src0_sel:DWORD src1_sel:DWORD
	v_add_f16_e32 v1, v12, v1
	v_mov_b32_e32 v4, 2
	v_add_f16_e32 v55, v55, v63
	v_add_f16_e32 v50, v97, v50
	v_fmac_f16_e32 v100, 0x2fb7, v43
	v_fmac_f16_e32 v126, 0x388b, v43
	v_fma_f16 v5, v44, 0xb9fd, -v82
	v_add_f16_e32 v0, v57, v0
	v_fmac_f16_e32 v56, 0xb9fd, v43
	v_add_f16_e32 v115, v127, v115
	v_or_b32_sdwa v1, v2, v1 dst_sel:DWORD dst_unused:UNUSED_PAD src0_sel:DWORD src1_sel:WORD_0
	v_lshlrev_b32_sdwa v2, v4, v38 dst_sel:DWORD dst_unused:UNUSED_PAD src0_sel:DWORD src1_sel:WORD_0
	v_pack_b32_f16 v4, v51, v55
	v_pack_b32_f16 v7, v45, v46
	v_add_f16_e32 v50, v100, v50
	v_add_f16_e32 v6, v126, v6
	;; [unrolled: 1-line block ×4, first 2 shown]
	ds_write_b32 v2, v1
	ds_write2_b32 v2, v7, v4 offset0:1 offset1:2
	v_pack_b32_f16 v1, v108, v104
	v_pack_b32_f16 v4, v54, v115
	v_pack_b32_f16 v5, v48, v47
	v_pack_b32_f16 v7, v102, v93
	v_pack_b32_f16 v9, v53, v52
	v_pack_b32_f16 v10, v50, v49
	v_pack_b32_f16 v0, v0, v3
	v_pack_b32_f16 v3, v6, v8
	v_perm_b32 v6, v41, v35, 0x5040100
	v_perm_b32 v8, v40, v24, 0x5040100
	ds_write2_b32 v2, v4, v1 offset0:3 offset1:4
	ds_write2_b32 v2, v7, v5 offset0:5 offset1:6
	;; [unrolled: 1-line block ×5, first 2 shown]
.LBB0_7:
	s_or_b32 exec_lo, exec_lo, s4
	v_and_b32_e32 v0, 0xff, v37
	s_load_dwordx4 s[4:7], s[2:3], 0x0
	s_waitcnt lgkmcnt(0)
	s_barrier
	buffer_gl0_inv
	v_mul_lo_u16 v0, 0x4f, v0
	v_add_nc_u32_e32 v10, 0xa00, v36
	v_add_nc_u32_e32 v18, 0x400, v36
	;; [unrolled: 1-line block ×4, first 2 shown]
	v_lshrrev_b16 v23, 10, v0
	v_mul_lo_u16 v0, v23, 13
	v_sub_nc_u16 v0, v37, v0
	v_and_b32_e32 v25, 0xff, v0
	v_mul_u32_u24_e32 v0, 10, v25
	v_lshlrev_b32_e32 v8, 2, v0
	s_clause 0x2
	global_load_dwordx4 v[4:7], v8, s[0:1]
	global_load_dwordx4 v[0:3], v8, s[0:1] offset:16
	global_load_dwordx2 v[21:22], v8, s[0:1] offset:32
	ds_read2_b32 v[8:9], v36 offset1:169
	ds_read_b32 v19, v36 offset:6760
	ds_read2_b32 v[16:17], v18 offset0:82 offset1:251
	ds_read2_b32 v[14:15], v10 offset0:36 offset1:205
	;; [unrolled: 1-line block ×4, first 2 shown]
	v_mov_b32_e32 v26, 0x8f
	s_waitcnt vmcnt(0) lgkmcnt(0)
	s_barrier
	buffer_gl0_inv
	v_mul_u32_u24_sdwa v23, v23, v26 dst_sel:DWORD dst_unused:UNUSED_PAD src0_sel:WORD_0 src1_sel:DWORD
	v_add_lshl_u32 v39, v23, v25, 2
	v_lshrrev_b32_e32 v30, 16, v14
	v_lshrrev_b32_e32 v26, 16, v9
	;; [unrolled: 1-line block ×10, first 2 shown]
	v_mul_f16_sdwa v23, v26, v4 dst_sel:DWORD dst_unused:UNUSED_PAD src0_sel:DWORD src1_sel:WORD_1
	v_mul_f16_sdwa v25, v9, v4 dst_sel:DWORD dst_unused:UNUSED_PAD src0_sel:DWORD src1_sel:WORD_1
	;; [unrolled: 1-line block ×7, first 2 shown]
	v_fma_f16 v9, v9, v4, -v23
	v_fmac_f16_e32 v25, v26, v4
	v_mul_f16_sdwa v45, v29, v6 dst_sel:DWORD dst_unused:UNUSED_PAD src0_sel:DWORD src1_sel:WORD_1
	v_mul_f16_sdwa v46, v17, v6 dst_sel:DWORD dst_unused:UNUSED_PAD src0_sel:DWORD src1_sel:WORD_1
	;; [unrolled: 1-line block ×13, first 2 shown]
	v_fma_f16 v16, v16, v5, -v43
	v_fmac_f16_e32 v44, v28, v5
	v_fma_f16 v11, v11, v21, -v57
	v_fma_f16 v19, v19, v22, -v58
	v_fmac_f16_e32 v66, v27, v22
	v_add_f16_e32 v23, v9, v8
	v_add_f16_sdwa v26, v25, v8 dst_sel:DWORD dst_unused:UNUSED_PAD src0_sel:DWORD src1_sel:WORD_1
	v_fma_f16 v17, v17, v6, -v45
	v_fmac_f16_e32 v46, v29, v6
	v_fma_f16 v14, v14, v7, -v47
	v_fmac_f16_e32 v48, v30, v7
	;; [unrolled: 2-line block ×6, first 2 shown]
	v_fmac_f16_e32 v65, v42, v21
	v_add_f16_e32 v27, v9, v19
	v_add_f16_e32 v28, v25, v66
	v_sub_f16_e32 v9, v9, v19
	v_sub_f16_e32 v25, v25, v66
	v_add_f16_e32 v29, v16, v11
	v_sub_f16_e32 v31, v16, v11
	v_add_f16_e32 v16, v23, v16
	v_add_f16_e32 v23, v26, v44
	;; [unrolled: 1-line block ×3, first 2 shown]
	v_sub_f16_e32 v32, v44, v65
	v_add_f16_e32 v33, v17, v10
	v_sub_f16_e32 v42, v17, v10
	v_sub_f16_e32 v43, v46, v56
	v_sub_f16_e32 v49, v14, v13
	v_sub_f16_e32 v51, v48, v54
	v_sub_f16_e32 v55, v15, v12
	v_sub_f16_e32 v57, v50, v52
	v_mul_f16_e32 v26, 0xb853, v25
	v_mul_f16_e32 v44, 0xb853, v9
	v_mul_f16_e32 v59, 0xbb47, v25
	v_mul_f16_e32 v60, 0xbb47, v9
	v_mul_f16_e32 v61, 0xbbeb, v25
	v_mul_f16_e32 v62, 0xbbeb, v9
	v_mul_f16_e32 v63, 0xba0c, v25
	v_mul_f16_e32 v64, 0xba0c, v9
	v_mul_f16_e32 v25, 0xb482, v25
	v_mul_f16_e32 v9, 0xb482, v9
	v_add_f16_e32 v16, v16, v17
	v_add_f16_e32 v17, v23, v46
	;; [unrolled: 1-line block ×7, first 2 shown]
	v_mul_f16_e32 v67, 0xbb47, v32
	v_mul_f16_e32 v68, 0xbb47, v31
	;; [unrolled: 1-line block ×40, first 2 shown]
	v_fma_f16 v23, v27, 0x3abb, -v26
	v_fmamk_f16 v46, v28, 0x3abb, v44
	v_fmac_f16_e32 v26, 0x3abb, v27
	v_fma_f16 v44, v28, 0x3abb, -v44
	v_fma_f16 v99, v27, 0x36a6, -v59
	v_fmamk_f16 v100, v28, 0x36a6, v60
	v_fmac_f16_e32 v59, 0x36a6, v27
	v_fma_f16 v60, v28, 0x36a6, -v60
	;; [unrolled: 4-line block ×5, first 2 shown]
	v_add_f16_e32 v14, v16, v14
	v_add_f16_e32 v16, v17, v48
	v_fma_f16 v27, v29, 0x36a6, -v67
	v_fmamk_f16 v28, v30, 0x36a6, v68
	v_fmac_f16_e32 v67, 0x36a6, v29
	v_fma_f16 v68, v30, 0x36a6, -v68
	v_fma_f16 v107, v29, 0xb93d, -v69
	v_fmamk_f16 v108, v30, 0xb93d, v70
	v_fmac_f16_e32 v69, 0xb93d, v29
	v_fma_f16 v70, v30, 0xb93d, -v70
	;; [unrolled: 4-line block ×15, first 2 shown]
	v_fma_f16 v47, v53, 0xbbad, -v91
	v_fmac_f16_e32 v91, 0xbbad, v53
	v_fma_f16 v49, v53, 0x3abb, -v92
	v_fmac_f16_e32 v92, 0x3abb, v53
	v_fma_f16 v131, v53, 0xb93d, -v93
	v_fmac_f16_e32 v93, 0xb93d, v53
	v_fma_f16 v132, v53, 0x36a6, -v94
	v_fmac_f16_e32 v94, 0x36a6, v53
	v_fma_f16 v133, v53, 0xb08e, -v95
	v_fmac_f16_e32 v95, 0xb08e, v53
	v_fmamk_f16 v53, v58, 0xbbad, v57
	v_fma_f16 v57, v58, 0xbbad, -v57
	v_fmamk_f16 v134, v58, 0x3abb, v96
	v_fma_f16 v96, v58, 0x3abb, -v96
	;; [unrolled: 2-line block ×5, first 2 shown]
	v_add_f16_e32 v23, v23, v8
	v_add_f16_sdwa v46, v46, v8 dst_sel:DWORD dst_unused:UNUSED_PAD src0_sel:DWORD src1_sel:WORD_1
	v_add_f16_e32 v26, v26, v8
	v_add_f16_sdwa v44, v44, v8 dst_sel:DWORD dst_unused:UNUSED_PAD src0_sel:DWORD src1_sel:WORD_1
	;; [unrolled: 2-line block ×10, first 2 shown]
	v_add_f16_e32 v9, v14, v15
	v_add_f16_e32 v14, v16, v50
	;; [unrolled: 1-line block ×83, first 2 shown]
	v_add_f16_sdwa v9, v9, v66 dst_sel:WORD_1 dst_unused:UNUSED_PAD src0_sel:DWORD src1_sel:DWORD
	v_add_f16_e32 v34, v94, v48
	v_add_f16_e32 v61, v98, v50
	v_add_f16_e32 v33, v95, v25
	v_add_f16_e32 v59, v97, v43
	v_add_f16_e32 v23, v91, v15
	v_add_f16_e32 v57, v57, v16
	v_add_f16_e32 v26, v47, v13
	v_add_f16_e32 v51, v53, v14
	v_pack_b32_f16 v11, v27, v52
	v_pack_b32_f16 v12, v28, v60
	;; [unrolled: 1-line block ×4, first 2 shown]
	v_or_b32_sdwa v25, v9, v8 dst_sel:DWORD dst_unused:UNUSED_PAD src0_sel:DWORD src1_sel:WORD_0
	v_pack_b32_f16 v15, v33, v64
	v_pack_b32_f16 v16, v34, v61
	;; [unrolled: 1-line block ×6, first 2 shown]
	ds_write2_b32 v39, v11, v12 offset0:26 offset1:39
	ds_write2_b32 v39, v13, v14 offset0:52 offset1:65
	;; [unrolled: 1-line block ×4, first 2 shown]
	ds_write_b32 v39, v42 offset:520
	ds_write2_b32 v39, v25, v10 offset1:13
	s_waitcnt lgkmcnt(0)
	s_barrier
	buffer_gl0_inv
	s_and_saveexec_b32 s2, vcc_lo
	s_cbranch_execz .LBB0_9
; %bb.8:
	v_add_nc_u32_e32 v8, 0x800, v36
	v_add_nc_u32_e32 v9, 0xc00, v36
	v_add_nc_u32_e32 v10, 0x1100, v36
	ds_read2_b32 v[25:26], v36 offset1:143
	ds_read2_b32 v[27:28], v18 offset0:30 offset1:173
	ds_read2_b32 v[31:32], v8 offset0:60 offset1:203
	v_add_nc_u32_e32 v8, 0x1600, v36
	ds_read2_b32 v[33:34], v9 offset0:90 offset1:233
	ds_read2_b32 v[29:30], v10 offset0:56 offset1:199
	ds_read2_b32 v[23:24], v8 offset0:22 offset1:165
	ds_read_b32 v35, v36 offset:6864
	s_waitcnt lgkmcnt(6)
	v_lshrrev_b32_e32 v51, 16, v26
	s_waitcnt lgkmcnt(5)
	v_lshrrev_b32_e32 v52, 16, v27
	v_lshrrev_b32_e32 v60, 16, v28
	s_waitcnt lgkmcnt(4)
	v_lshrrev_b32_e32 v62, 16, v31
	;; [unrolled: 3-line block ×6, first 2 shown]
.LBB0_9:
	s_or_b32 exec_lo, exec_lo, s2
	v_add_nc_u32_e32 v8, 0xffffff71, v37
	v_cndmask_b32_e32 v8, v8, v37, vcc_lo
	v_mul_i32_i24_e32 v9, 48, v8
	v_mul_hi_i32_i24_e32 v8, 48, v8
	v_add_co_u32 v16, s0, s0, v9
	v_add_co_ci_u32_e64 v17, s0, s1, v8, s0
	s_clause 0x2
	global_load_dwordx4 v[12:15], v[16:17], off offset:520
	global_load_dwordx4 v[8:11], v[16:17], off offset:536
	;; [unrolled: 1-line block ×3, first 2 shown]
	s_waitcnt vmcnt(2)
	v_mul_f16_sdwa v54, v51, v12 dst_sel:DWORD dst_unused:UNUSED_PAD src0_sel:DWORD src1_sel:WORD_1
	v_mul_f16_sdwa v65, v26, v12 dst_sel:DWORD dst_unused:UNUSED_PAD src0_sel:DWORD src1_sel:WORD_1
	;; [unrolled: 1-line block ×4, first 2 shown]
	s_waitcnt vmcnt(0)
	v_mul_f16_sdwa v73, v57, v17 dst_sel:DWORD dst_unused:UNUSED_PAD src0_sel:DWORD src1_sel:WORD_1
	v_mul_f16_sdwa v44, v24, v18 dst_sel:DWORD dst_unused:UNUSED_PAD src0_sel:DWORD src1_sel:WORD_1
	;; [unrolled: 1-line block ×4, first 2 shown]
	v_fma_f16 v76, v26, v12, -v54
	v_fmac_f16_e32 v65, v51, v12
	v_mul_f16_sdwa v66, v60, v14 dst_sel:DWORD dst_unused:UNUSED_PAD src0_sel:DWORD src1_sel:WORD_1
	v_mul_f16_sdwa v53, v28, v14 dst_sel:DWORD dst_unused:UNUSED_PAD src0_sel:DWORD src1_sel:WORD_1
	;; [unrolled: 1-line block ×4, first 2 shown]
	v_fma_f16 v56, v27, v13, -v56
	v_fmac_f16_e32 v55, v52, v13
	v_fma_f16 v26, v23, v17, -v73
	v_fma_f16 v23, v35, v19, -v75
	v_fmac_f16_e32 v45, v41, v19
	v_fmac_f16_e32 v44, v40, v18
	v_add_f16_e32 v35, v76, v25
	v_add_f16_sdwa v40, v65, v25 dst_sel:DWORD dst_unused:UNUSED_PAD src0_sel:DWORD src1_sel:WORD_1
	v_mul_f16_sdwa v67, v62, v15 dst_sel:DWORD dst_unused:UNUSED_PAD src0_sel:DWORD src1_sel:WORD_1
	v_mul_f16_sdwa v50, v31, v15 dst_sel:DWORD dst_unused:UNUSED_PAD src0_sel:DWORD src1_sel:WORD_1
	;; [unrolled: 1-line block ×8, first 2 shown]
	v_fma_f16 v54, v28, v14, -v66
	v_fmac_f16_e32 v53, v60, v14
	v_fmac_f16_e32 v43, v57, v17
	v_fma_f16 v24, v24, v18, -v74
	v_sub_f16_e32 v41, v76, v23
	v_sub_f16_e32 v57, v65, v45
	v_add_f16_e32 v35, v35, v56
	v_add_f16_e32 v40, v40, v55
	v_mul_f16_sdwa v48, v33, v9 dst_sel:DWORD dst_unused:UNUSED_PAD src0_sel:DWORD src1_sel:WORD_1
	v_mul_f16_sdwa v47, v34, v10 dst_sel:DWORD dst_unused:UNUSED_PAD src0_sel:DWORD src1_sel:WORD_1
	;; [unrolled: 1-line block ×4, first 2 shown]
	v_fma_f16 v52, v31, v15, -v67
	v_fmac_f16_e32 v50, v62, v15
	v_fma_f16 v51, v32, v8, -v68
	v_fmac_f16_e32 v49, v63, v8
	v_fma_f16 v32, v33, v9, -v69
	v_fma_f16 v31, v34, v10, -v70
	;; [unrolled: 1-line block ×4, first 2 shown]
	v_add_f16_e32 v29, v76, v23
	v_add_f16_e32 v30, v65, v45
	;; [unrolled: 1-line block ×4, first 2 shown]
	v_sub_f16_e32 v62, v56, v24
	v_sub_f16_e32 v63, v55, v44
	v_mul_f16_e32 v55, 0xb770, v57
	v_mul_f16_e32 v56, 0xb770, v41
	;; [unrolled: 1-line block ×12, first 2 shown]
	v_add_f16_e32 v35, v35, v54
	v_add_f16_e32 v40, v40, v53
	v_fmac_f16_e32 v46, v59, v11
	v_fmac_f16_e32 v42, v58, v16
	v_add_f16_e32 v58, v54, v26
	v_add_f16_e32 v59, v53, v43
	v_sub_f16_e32 v65, v54, v26
	v_sub_f16_e32 v66, v53, v43
	v_fma_f16 v53, v29, 0x3b15, -v55
	v_fmamk_f16 v54, v30, 0x3b15, v56
	v_fmac_f16_e32 v55, 0x3b15, v29
	v_fma_f16 v56, v30, 0x3b15, -v56
	v_fma_f16 v126, v29, 0x388b, -v76
	v_fmamk_f16 v127, v30, 0x388b, v77
	v_fmac_f16_e32 v76, 0x388b, v29
	v_fma_f16 v77, v30, 0x388b, -v77
	;; [unrolled: 4-line block ×6, first 2 shown]
	v_add_f16_e32 v35, v35, v52
	v_add_f16_e32 v40, v40, v50
	v_fmac_f16_e32 v48, v64, v9
	v_fmac_f16_e32 v47, v61, v10
	v_add_f16_e32 v60, v52, v27
	v_add_f16_e32 v61, v50, v42
	v_sub_f16_e32 v67, v52, v27
	v_sub_f16_e32 v68, v50, v42
	v_add_f16_e32 v53, v53, v25
	v_add_f16_sdwa v54, v54, v25 dst_sel:DWORD dst_unused:UNUSED_PAD src0_sel:DWORD src1_sel:WORD_1
	v_add_f16_e32 v55, v55, v25
	v_add_f16_sdwa v56, v56, v25 dst_sel:DWORD dst_unused:UNUSED_PAD src0_sel:DWORD src1_sel:WORD_1
	;; [unrolled: 2-line block ×12, first 2 shown]
	v_add_f16_e32 v29, v35, v51
	v_add_f16_e32 v35, v40, v49
	;; [unrolled: 1-line block ×3, first 2 shown]
	v_sub_f16_e32 v73, v32, v31
	v_mul_f16_e32 v84, 0xba95, v63
	v_add_f16_e32 v29, v29, v32
	v_add_f16_e32 v32, v35, v48
	v_mul_f16_e32 v85, 0xba95, v62
	v_add_f16_e32 v64, v51, v28
	v_sub_f16_e32 v74, v51, v28
	v_add_f16_e32 v29, v29, v31
	v_add_f16_e32 v31, v32, v47
	v_mul_f16_e32 v86, 0xbb7b, v63
	v_mul_f16_e32 v87, 0xbb7b, v62
	;; [unrolled: 1-line block ×12, first 2 shown]
	v_fma_f16 v30, v33, 0x388b, -v84
	v_fmamk_f16 v41, v34, 0x388b, v85
	v_fmac_f16_e32 v84, 0x388b, v33
	v_fma_f16 v85, v34, 0x388b, -v85
	v_add_f16_e32 v28, v29, v28
	v_add_f16_e32 v29, v31, v46
	v_sub_f16_e32 v69, v49, v46
	v_add_f16_e32 v75, v49, v46
	v_mul_f16_e32 v96, 0xb3a8, v66
	v_mul_f16_e32 v97, 0xb3a8, v65
	;; [unrolled: 1-line block ×12, first 2 shown]
	v_fma_f16 v136, v33, 0xb5ac, -v86
	v_fmamk_f16 v137, v34, 0xb5ac, v87
	v_fmac_f16_e32 v86, 0xb5ac, v33
	v_fma_f16 v87, v34, 0xb5ac, -v87
	v_fma_f16 v138, v33, 0xbbc4, -v88
	v_fmamk_f16 v139, v34, 0xbbc4, v89
	v_fmac_f16_e32 v88, 0xbbc4, v33
	v_fma_f16 v89, v34, 0xbbc4, -v89
	;; [unrolled: 4-line block ×6, first 2 shown]
	v_add_f16_e32 v30, v30, v53
	v_add_f16_e32 v40, v41, v54
	;; [unrolled: 1-line block ×6, first 2 shown]
	v_sub_f16_e32 v72, v48, v47
	v_mul_f16_e32 v106, 0x394e, v68
	v_mul_f16_e32 v107, 0x394e, v67
	;; [unrolled: 1-line block ×17, first 2 shown]
	v_fma_f16 v146, v58, 0xbbc4, -v96
	v_fmamk_f16 v147, v59, 0xbbc4, v97
	v_fmac_f16_e32 v96, 0xbbc4, v58
	v_fma_f16 v97, v59, 0xbbc4, -v97
	v_fma_f16 v148, v58, 0xb5ac, -v98
	v_fmamk_f16 v149, v59, 0xb5ac, v99
	v_fmac_f16_e32 v98, 0xb5ac, v58
	v_fma_f16 v99, v59, 0xb5ac, -v99
	;; [unrolled: 4-line block ×6, first 2 shown]
	v_add_f16_e32 v51, v136, v126
	v_add_f16_e32 v53, v137, v127
	;; [unrolled: 1-line block ×10, first 2 shown]
	v_mul_f16_e32 v120, 0x3bf1, v74
	v_mul_f16_e32 v121, 0xba95, v74
	;; [unrolled: 1-line block ×7, first 2 shown]
	v_fma_f16 v156, v60, 0xb9fd, -v106
	v_fmamk_f16 v157, v61, 0xb9fd, v107
	v_fmac_f16_e32 v106, 0xb9fd, v60
	v_fma_f16 v107, v61, 0xb9fd, -v107
	v_fma_f16 v158, v60, 0x3b15, -v108
	v_fmamk_f16 v159, v61, 0x3b15, v109
	v_fmac_f16_e32 v108, 0x3b15, v60
	v_fma_f16 v109, v61, 0x3b15, -v109
	;; [unrolled: 4-line block ×5, first 2 shown]
	v_fma_f16 v61, v64, 0xb9fd, -v114
	v_fmac_f16_e32 v114, 0xb9fd, v64
	v_fma_f16 v67, v64, 0x2fb7, -v115
	v_fmac_f16_e32 v115, 0x2fb7, v64
	;; [unrolled: 2-line block ×6, first 2 shown]
	v_fmamk_f16 v64, v75, 0xb9fd, v119
	v_fma_f16 v119, v75, 0xb9fd, -v119
	v_add_f16_e32 v54, v86, v76
	v_add_f16_e32 v55, v87, v77
	;; [unrolled: 1-line block ×13, first 2 shown]
	v_fmamk_f16 v170, v75, 0x2fb7, v120
	v_fma_f16 v120, v75, 0x2fb7, -v120
	v_fmamk_f16 v171, v75, 0x388b, v121
	v_fma_f16 v121, v75, 0x388b, -v121
	;; [unrolled: 2-line block ×5, first 2 shown]
	v_fma_f16 v75, v70, 0xbbc4, -v124
	v_add_f16_e32 v76, v88, v78
	v_add_f16_e32 v48, v96, v54
	;; [unrolled: 1-line block ×13, first 2 shown]
	v_add_f16_sdwa v24, v26, v45 dst_sel:WORD_1 dst_unused:UNUSED_PAD src0_sel:DWORD src1_sel:DWORD
	v_fma_f16 v26, v71, 0xbbc4, -v125
	v_mul_f16_e32 v27, 0x3770, v73
	v_fmamk_f16 v175, v71, 0xbbc4, v125
	v_add_f16_e32 v77, v89, v79
	v_add_f16_e32 v78, v140, v130
	;; [unrolled: 1-line block ×18, first 2 shown]
	v_or_b32_sdwa v24, v24, v23 dst_sel:DWORD dst_unused:UNUSED_PAD src0_sel:DWORD src1_sel:WORD_0
	v_mul_f16_e32 v23, 0x3770, v72
	v_add_f16_e32 v44, v26, v33
	v_fmamk_f16 v26, v71, 0x3b15, v27
	v_mul_f16_e32 v30, 0xb94e, v72
	v_add_f16_e32 v83, v93, v83
	v_add_f16_e32 v52, v63, v52
	;; [unrolled: 1-line block ×17, first 2 shown]
	v_fma_f16 v28, v70, 0x3b15, -v23
	v_fmac_f16_e32 v23, 0x3b15, v70
	v_fma_f16 v29, v71, 0x3b15, -v27
	v_add_f16_e32 v48, v26, v35
	v_fma_f16 v26, v70, 0xb9fd, -v30
	v_mul_f16_e32 v31, 0xb94e, v73
	v_add_f16_e32 v86, v144, v134
	v_add_f16_e32 v79, v103, v83
	;; [unrolled: 1-line block ×13, first 2 shown]
	v_fmac_f16_e32 v124, 0xbbc4, v70
	v_add_f16_e32 v27, v23, v40
	v_add_f16_e32 v45, v29, v41
	v_mul_f16_e32 v23, 0x3a95, v72
	v_add_f16_e32 v29, v26, v46
	v_fmamk_f16 v26, v71, 0xb9fd, v31
	v_fmac_f16_e32 v30, 0xb9fd, v70
	v_mul_f16_e32 v33, 0x3a95, v73
	v_add_f16_e32 v80, v154, v86
	v_add_f16_e32 v63, v113, v79
	v_add_f16_e32 v52, v68, v52
	v_add_f16_e32 v53, v121, v53
	v_add_f16_e32 v42, v167, v54
	v_add_f16_e32 v54, v172, v55
	v_add_f16_e32 v55, v117, v56
	v_add_f16_e32 v56, v122, v57
	v_add_f16_e32 v57, v168, v58
	v_add_f16_e32 v58, v173, v59
	v_add_f16_e32 v59, v118, v62
	v_add_f16_e32 v62, v174, v50
	v_add_f16_e32 v43, v124, v32
	v_add_f16_e32 v28, v28, v34
	v_fma_f16 v31, v71, 0xb9fd, -v31
	v_fma_f16 v32, v70, 0x388b, -v23
	v_add_f16_e32 v50, v26, v47
	v_add_f16_e32 v26, v30, v51
	v_fmamk_f16 v30, v71, 0x388b, v33
	v_mul_f16_e32 v34, 0xbb7b, v72
	v_fmac_f16_e32 v23, 0x388b, v70
	v_mul_f16_e32 v35, 0xbb7b, v73
	v_add_f16_e32 v65, v164, v80
	v_add_f16_e32 v60, v123, v63
	;; [unrolled: 1-line block ×4, first 2 shown]
	v_fma_f16 v33, v71, 0x388b, -v33
	v_add_f16_e32 v52, v30, v54
	v_fma_f16 v30, v70, 0xb5ac, -v34
	v_add_f16_e32 v31, v23, v55
	v_fmamk_f16 v23, v71, 0xb5ac, v35
	v_fmac_f16_e32 v34, 0xb5ac, v70
	v_mul_f16_e32 v40, 0x3bf1, v72
	v_mul_f16_e32 v41, 0x3bf1, v73
	v_add_f16_e32 v61, v169, v65
	v_add_f16_e32 v47, v33, v56
	;; [unrolled: 1-line block ×5, first 2 shown]
	v_fma_f16 v23, v71, 0xb5ac, -v35
	v_fma_f16 v34, v70, 0x2fb7, -v40
	v_fmamk_f16 v35, v71, 0x2fb7, v41
	v_fmac_f16_e32 v40, 0x2fb7, v70
	v_fma_f16 v41, v71, 0x2fb7, -v41
	v_add_f16_e32 v32, v32, v42
	v_add_f16_e32 v51, v23, v60
	;; [unrolled: 1-line block ×6, first 2 shown]
	s_and_saveexec_b32 s0, vcc_lo
	s_cbranch_execz .LBB0_11
; %bb.10:
	v_perm_b32 v23, v49, v25, 0x5040100
	v_perm_b32 v40, v48, v28, 0x5040100
	;; [unrolled: 1-line block ×3, first 2 shown]
	v_add_nc_u32_e32 v42, 0x400, v36
	v_perm_b32 v56, v53, v35, 0x5040100
	ds_write2_b32 v36, v24, v23 offset1:143
	ds_write2_b32 v42, v40, v41 offset0:30 offset1:173
	v_perm_b32 v23, v52, v32, 0x5040100
	v_perm_b32 v40, v54, v33, 0x5040100
	v_add_nc_u32_e32 v41, 0x800, v36
	v_perm_b32 v42, v55, v34, 0x5040100
	v_add_nc_u32_e32 v57, 0xc00, v36
	v_perm_b32 v58, v51, v30, 0x5040100
	v_perm_b32 v59, v47, v31, 0x5040100
	v_add_nc_u32_e32 v60, 0x1100, v36
	v_perm_b32 v61, v46, v26, 0x5040100
	v_perm_b32 v62, v45, v27, 0x5040100
	v_add_nc_u32_e32 v63, 0x1600, v36
	v_perm_b32 v64, v44, v43, 0x5040100
	ds_write2_b32 v41, v23, v40 offset0:60 offset1:203
	ds_write2_b32 v57, v42, v56 offset0:90 offset1:233
	;; [unrolled: 1-line block ×4, first 2 shown]
	ds_write_b32 v36, v64 offset:6864
.LBB0_11:
	s_or_b32 exec_lo, exec_lo, s0
	s_waitcnt lgkmcnt(0)
	s_barrier
	buffer_gl0_inv
	s_and_saveexec_b32 s1, vcc_lo
	s_cbranch_execz .LBB0_13
; %bb.12:
	v_add_co_u32 v23, s0, s14, v36
	v_add_co_ci_u32_e64 v42, null, s15, 0, s0
	v_add_nc_u32_e32 v76, 0x200, v36
	v_add_co_u32 v40, s0, 0x1800, v23
	v_add_co_ci_u32_e64 v41, s0, 0, v42, s0
	v_add_nc_u32_e32 v77, 0x600, v36
	v_add_nc_u32_e32 v78, 0xa00, v36
	;; [unrolled: 1-line block ×3, first 2 shown]
	global_load_dword v60, v[40:41], off offset:1292
	v_add_co_u32 v40, s0, 0x1d0c, v23
	v_add_co_ci_u32_e64 v41, s0, 0, v42, s0
	v_add_co_u32 v56, s0, 0x2000, v23
	v_add_co_ci_u32_e64 v57, s0, 0, v42, s0
	v_add_co_u32 v58, s0, 0x2800, v23
	v_add_co_ci_u32_e64 v59, s0, 0, v42, s0
	s_clause 0x6
	global_load_dword v66, v[40:41], off offset:572
	global_load_dword v67, v[40:41], off offset:1144
	;; [unrolled: 1-line block ×7, first 2 shown]
	v_add_co_u32 v40, s0, 0x3000, v23
	v_add_co_ci_u32_e64 v41, s0, 0, v42, s0
	s_clause 0x4
	global_load_dword v23, v[58:59], off offset:1772
	global_load_dword v42, v[40:41], off offset:296
	;; [unrolled: 1-line block ×5, first 2 shown]
	ds_read_b32 v40, v36
	v_add_nc_u32_e32 v80, 0x1400, v36
	v_add_nc_u32_e32 v81, 0x1800, v36
	s_waitcnt lgkmcnt(0)
	v_lshrrev_b32_e32 v41, 16, v40
	s_waitcnt vmcnt(12)
	v_mul_f16_sdwa v56, v41, v60 dst_sel:DWORD dst_unused:UNUSED_PAD src0_sel:DWORD src1_sel:WORD_1
	v_mul_f16_sdwa v57, v40, v60 dst_sel:DWORD dst_unused:UNUSED_PAD src0_sel:DWORD src1_sel:WORD_1
	v_fma_f16 v40, v40, v60, -v56
	v_fmac_f16_e32 v57, v41, v60
	v_pack_b32_f16 v40, v40, v57
	ds_write_b32 v36, v40
	ds_read2_b32 v[40:41], v76 offset0:15 offset1:158
	ds_read2_b32 v[56:57], v77 offset0:45 offset1:188
	;; [unrolled: 1-line block ×6, first 2 shown]
	s_waitcnt lgkmcnt(5)
	v_lshrrev_b32_e32 v82, 16, v40
	s_waitcnt vmcnt(11)
	v_mul_f16_sdwa v83, v40, v66 dst_sel:DWORD dst_unused:UNUSED_PAD src0_sel:DWORD src1_sel:WORD_1
	v_lshrrev_b32_e32 v84, 16, v41
	s_waitcnt vmcnt(10)
	v_mul_f16_sdwa v85, v41, v67 dst_sel:DWORD dst_unused:UNUSED_PAD src0_sel:DWORD src1_sel:WORD_1
	s_waitcnt lgkmcnt(4)
	v_lshrrev_b32_e32 v86, 16, v56
	s_waitcnt vmcnt(5)
	v_mul_f16_sdwa v87, v56, v72 dst_sel:DWORD dst_unused:UNUSED_PAD src0_sel:DWORD src1_sel:WORD_1
	v_lshrrev_b32_e32 v88, 16, v57
	v_mul_f16_sdwa v89, v57, v68 dst_sel:DWORD dst_unused:UNUSED_PAD src0_sel:DWORD src1_sel:WORD_1
	s_waitcnt lgkmcnt(3)
	v_lshrrev_b32_e32 v90, 16, v58
	v_mul_f16_sdwa v91, v58, v69 dst_sel:DWORD dst_unused:UNUSED_PAD src0_sel:DWORD src1_sel:WORD_1
	v_lshrrev_b32_e32 v92, 16, v59
	v_mul_f16_sdwa v93, v59, v70 dst_sel:DWORD dst_unused:UNUSED_PAD src0_sel:DWORD src1_sel:WORD_1
	s_waitcnt lgkmcnt(2)
	v_lshrrev_b32_e32 v94, 16, v60
	v_mul_f16_sdwa v95, v60, v71 dst_sel:DWORD dst_unused:UNUSED_PAD src0_sel:DWORD src1_sel:WORD_1
	v_lshrrev_b32_e32 v96, 16, v61
	s_waitcnt vmcnt(4)
	v_mul_f16_sdwa v97, v61, v23 dst_sel:DWORD dst_unused:UNUSED_PAD src0_sel:DWORD src1_sel:WORD_1
	s_waitcnt lgkmcnt(1)
	v_lshrrev_b32_e32 v98, 16, v62
	s_waitcnt vmcnt(3)
	v_mul_f16_sdwa v99, v62, v42 dst_sel:DWORD dst_unused:UNUSED_PAD src0_sel:DWORD src1_sel:WORD_1
	v_lshrrev_b32_e32 v100, 16, v63
	s_waitcnt vmcnt(2)
	v_mul_f16_sdwa v101, v63, v73 dst_sel:DWORD dst_unused:UNUSED_PAD src0_sel:DWORD src1_sel:WORD_1
	s_waitcnt lgkmcnt(0)
	v_lshrrev_b32_e32 v102, 16, v64
	s_waitcnt vmcnt(1)
	v_mul_f16_sdwa v103, v64, v74 dst_sel:DWORD dst_unused:UNUSED_PAD src0_sel:DWORD src1_sel:WORD_1
	v_lshrrev_b32_e32 v104, 16, v65
	v_mul_f16_sdwa v106, v82, v66 dst_sel:DWORD dst_unused:UNUSED_PAD src0_sel:DWORD src1_sel:WORD_1
	v_fmac_f16_e32 v83, v82, v66
	v_mul_f16_sdwa v82, v84, v67 dst_sel:DWORD dst_unused:UNUSED_PAD src0_sel:DWORD src1_sel:WORD_1
	v_fmac_f16_e32 v85, v84, v67
	;; [unrolled: 2-line block ×9, first 2 shown]
	v_mul_f16_sdwa v98, v100, v73 dst_sel:DWORD dst_unused:UNUSED_PAD src0_sel:DWORD src1_sel:WORD_1
	s_waitcnt vmcnt(0)
	v_mul_f16_sdwa v105, v65, v75 dst_sel:DWORD dst_unused:UNUSED_PAD src0_sel:DWORD src1_sel:WORD_1
	v_fmac_f16_e32 v101, v100, v73
	v_mul_f16_sdwa v100, v102, v74 dst_sel:DWORD dst_unused:UNUSED_PAD src0_sel:DWORD src1_sel:WORD_1
	v_fmac_f16_e32 v103, v102, v74
	v_mul_f16_sdwa v102, v104, v75 dst_sel:DWORD dst_unused:UNUSED_PAD src0_sel:DWORD src1_sel:WORD_1
	v_fma_f16 v40, v40, v66, -v106
	v_fma_f16 v41, v41, v67, -v82
	;; [unrolled: 1-line block ×10, first 2 shown]
	v_fmac_f16_e32 v105, v104, v75
	v_fma_f16 v62, v64, v74, -v100
	v_fma_f16 v63, v65, v75, -v102
	v_pack_b32_f16 v40, v40, v83
	v_pack_b32_f16 v41, v41, v85
	;; [unrolled: 1-line block ×12, first 2 shown]
	ds_write2_b32 v76, v40, v41 offset0:15 offset1:158
	ds_write2_b32 v77, v56, v57 offset0:45 offset1:188
	;; [unrolled: 1-line block ×6, first 2 shown]
.LBB0_13:
	s_or_b32 exec_lo, exec_lo, s1
	s_waitcnt lgkmcnt(0)
	s_barrier
	buffer_gl0_inv
	s_and_saveexec_b32 s0, vcc_lo
	s_cbranch_execz .LBB0_15
; %bb.14:
	v_add_nc_u32_e32 v23, 0x400, v36
	v_add_nc_u32_e32 v26, 0x800, v36
	;; [unrolled: 1-line block ×3, first 2 shown]
	ds_read2_b32 v[24:25], v36 offset1:143
	ds_read2_b32 v[28:29], v23 offset0:30 offset1:173
	v_add_nc_u32_e32 v23, 0x1100, v36
	ds_read2_b32 v[32:33], v26 offset0:60 offset1:203
	v_add_nc_u32_e32 v26, 0x1600, v36
	ds_read2_b32 v[34:35], v27 offset0:90 offset1:233
	ds_read2_b32 v[30:31], v23 offset0:56 offset1:199
	;; [unrolled: 1-line block ×3, first 2 shown]
	ds_read_b32 v43, v36 offset:6864
	s_waitcnt lgkmcnt(6)
	v_lshrrev_b32_e32 v49, 16, v25
	s_waitcnt lgkmcnt(5)
	v_lshrrev_b32_e32 v48, 16, v28
	v_lshrrev_b32_e32 v50, 16, v29
	s_waitcnt lgkmcnt(4)
	v_lshrrev_b32_e32 v52, 16, v32
	;; [unrolled: 3-line block ×6, first 2 shown]
.LBB0_15:
	s_or_b32 exec_lo, exec_lo, s0
	v_sub_f16_e32 v77, v49, v44
	v_add_f16_e32 v57, v43, v25
	v_sub_f16_e32 v83, v48, v45
	v_add_f16_e32 v90, v44, v49
	v_add_f16_e32 v56, v27, v28
	v_mul_f16_e32 v70, 0xb770, v77
	v_sub_f16_e32 v61, v25, v43
	v_mul_f16_e32 v71, 0xba95, v83
	v_mul_f16_e32 v72, 0x3b15, v90
	v_add_f16_e32 v93, v45, v48
	v_fma_f16 v23, v57, 0x3b15, -v70
	v_mul_f16_e32 v78, 0xba95, v77
	v_fma_f16 v58, v56, 0x388b, -v71
	v_sub_f16_e32 v89, v50, v46
	v_fmamk_f16 v40, v61, 0xb770, v72
	v_add_f16_e32 v23, v23, v24
	v_mul_f16_e32 v74, 0x388b, v90
	v_fma_f16 v41, v57, 0x388b, -v78
	v_sub_f16_e32 v64, v28, v27
	v_mul_f16_e32 v75, 0x388b, v93
	v_add_f16_e32 v23, v58, v23
	v_mul_f16_e32 v85, 0xbb7b, v83
	v_add_f16_e32 v58, v26, v29
	;; [unrolled: 2-line block ×3, first 2 shown]
	v_add_f16_sdwa v40, v40, v24 dst_sel:DWORD dst_unused:UNUSED_PAD src0_sel:DWORD src1_sel:WORD_1
	v_fmamk_f16 v42, v61, 0xba95, v74
	v_add_f16_e32 v41, v41, v24
	v_fmamk_f16 v59, v64, 0xba95, v75
	v_mul_f16_e32 v80, 0xb5ac, v93
	v_fma_f16 v60, v56, 0xb5ac, -v85
	v_sub_f16_e32 v62, v29, v26
	v_fma_f16 v65, v58, 0x2fb7, -v73
	v_mul_f16_e32 v79, 0x2fb7, v99
	v_sub_f16_e32 v96, v52, v47
	v_add_f16_e32 v101, v47, v52
	v_add_f16_sdwa v42, v42, v24 dst_sel:DWORD dst_unused:UNUSED_PAD src0_sel:DWORD src1_sel:WORD_1
	v_fmamk_f16 v63, v64, 0xbb7b, v80
	v_add_f16_e32 v40, v59, v40
	v_add_f16_e32 v41, v60, v41
	v_add_f16_e32 v23, v65, v23
	v_fmamk_f16 v60, v62, 0xbbf1, v79
	v_mul_f16_e32 v88, 0xb3a8, v89
	v_add_f16_e32 v59, v31, v32
	v_mul_f16_e32 v76, 0xbb7b, v96
	v_sub_f16_e32 v65, v32, v31
	v_mul_f16_e32 v84, 0xb5ac, v101
	v_add_f16_e32 v42, v63, v42
	v_mul_f16_e32 v87, 0xbbc4, v99
	v_fma_f16 v63, v58, 0xbbc4, -v88
	v_fma_f16 v67, v59, 0xb5ac, -v76
	v_add_f16_e32 v40, v60, v40
	v_fmamk_f16 v60, v65, 0xbb7b, v84
	v_mul_f16_e32 v91, 0x394e, v96
	v_sub_f16_e32 v100, v54, v51
	v_add_f16_e32 v103, v51, v54
	v_fmamk_f16 v66, v62, 0xb3a8, v87
	v_add_f16_e32 v41, v63, v41
	v_add_f16_e32 v23, v67, v23
	;; [unrolled: 1-line block ×3, first 2 shown]
	v_mul_f16_e32 v95, 0xb9fd, v101
	v_fma_f16 v63, v59, 0xb9fd, -v91
	v_add_f16_e32 v60, v30, v33
	v_mul_f16_e32 v82, 0xb94e, v100
	v_sub_f16_e32 v67, v33, v30
	v_mul_f16_e32 v86, 0xb9fd, v103
	v_add_f16_e32 v42, v66, v42
	v_mul_f16_e32 v94, 0x3bf1, v100
	v_fmamk_f16 v66, v65, 0x394e, v95
	v_fma_f16 v68, v60, 0xb9fd, -v82
	v_add_f16_e32 v41, v63, v41
	v_fmamk_f16 v63, v67, 0xb94e, v86
	v_mul_f16_e32 v97, 0x2fb7, v103
	v_sub_f16_e32 v102, v55, v53
	v_add_f16_e32 v104, v53, v55
	v_fma_f16 v69, v60, 0x2fb7, -v94
	v_add_f16_e32 v42, v66, v42
	v_add_f16_e32 v23, v68, v23
	;; [unrolled: 1-line block ×3, first 2 shown]
	v_fmamk_f16 v40, v67, 0x3bf1, v97
	v_add_f16_e32 v63, v35, v34
	v_sub_f16_e32 v68, v34, v35
	v_mul_f16_e32 v81, 0xb3a8, v102
	v_mul_f16_e32 v92, 0xbbc4, v104
	;; [unrolled: 1-line block ×4, first 2 shown]
	v_add_f16_e32 v41, v69, v41
	v_add_f16_e32 v69, v40, v42
	v_fma_f16 v40, v63, 0xbbc4, -v81
	v_fmamk_f16 v42, v68, 0xb3a8, v92
	v_fma_f16 v106, v63, 0x3b15, -v98
	v_fmamk_f16 v107, v68, 0x3770, v66
	v_add_f16_e32 v40, v40, v23
	v_add_f16_e32 v42, v42, v105
	;; [unrolled: 1-line block ×4, first 2 shown]
	s_barrier
	buffer_gl0_inv
	s_and_saveexec_b32 s0, vcc_lo
	s_cbranch_execz .LBB0_17
; %bb.16:
	v_mul_f16_e32 v112, 0xbbc4, v90
	v_mul_f16_e32 v118, 0x3b15, v93
	v_mul_f16_e32 v134, 0xb3a8, v77
	v_mul_f16_e32 v123, 0xb9fd, v99
	v_mul_f16_e32 v138, 0x3770, v83
	v_fmamk_f16 v117, v61, 0x33a8, v112
	v_fmamk_f16 v122, v64, 0xb770, v118
	;; [unrolled: 1-line block ×3, first 2 shown]
	v_mul_f16_e32 v139, 0xb9fd, v90
	v_mul_f16_e32 v127, 0x388b, v101
	v_add_f16_sdwa v117, v117, v24 dst_sel:DWORD dst_unused:UNUSED_PAD src0_sel:DWORD src1_sel:WORD_1
	v_fmamk_f16 v140, v56, 0x3b15, v138
	v_add_f16_e32 v137, v137, v24
	v_mul_f16_e32 v141, 0xb94e, v89
	v_fmamk_f16 v143, v61, 0x394e, v139
	v_add_f16_e32 v117, v122, v117
	v_fmamk_f16 v122, v62, 0x394e, v123
	v_mul_f16_e32 v144, 0x2fb7, v93
	v_mul_f16_e32 v131, 0xb5ac, v103
	v_add_f16_e32 v137, v140, v137
	v_fmamk_f16 v140, v58, 0xb9fd, v141
	v_add_f16_e32 v117, v122, v117
	v_fmamk_f16 v122, v65, 0xba95, v127
	v_mul_f16_e32 v145, 0x3a95, v96
	v_add_f16_sdwa v143, v143, v24 dst_sel:DWORD dst_unused:UNUSED_PAD src0_sel:DWORD src1_sel:WORD_1
	v_fmamk_f16 v146, v64, 0xbbf1, v144
	v_mul_f16_e32 v147, 0x388b, v99
	v_add_f16_e32 v117, v122, v117
	v_fmamk_f16 v122, v67, 0x3b7b, v131
	v_add_f16_e32 v137, v140, v137
	v_fmamk_f16 v140, v59, 0x388b, v145
	v_mul_f16_e32 v148, 0xbb7b, v100
	v_add_f16_e32 v143, v146, v143
	v_fmamk_f16 v146, v62, 0x3a95, v147
	v_mul_f16_e32 v149, 0xbbc4, v101
	v_add_f16_e32 v117, v122, v117
	v_mul_f16_e32 v122, 0x2fb7, v104
	v_add_f16_e32 v137, v140, v137
	v_fmamk_f16 v140, v60, 0xb5ac, v148
	v_add_f16_e32 v143, v146, v143
	v_fmamk_f16 v146, v65, 0xb3a8, v149
	v_mul_f16_e32 v151, 0x3b15, v103
	v_fmamk_f16 v142, v68, 0xbbf1, v122
	v_mul_f16_e32 v150, 0x3bf1, v102
	v_add_f16_e32 v137, v140, v137
	v_mul_f16_e32 v140, 0xb94e, v77
	v_add_f16_e32 v143, v146, v143
	v_fmamk_f16 v146, v67, 0xb770, v151
	v_mul_f16_e32 v106, 0xb770, v61
	v_fmamk_f16 v152, v63, 0x2fb7, v150
	v_add_f16_e32 v117, v142, v117
	v_fmamk_f16 v142, v57, 0xb9fd, v140
	v_mul_f16_e32 v153, 0x3bf1, v83
	v_add_f16_e32 v143, v146, v143
	v_mul_f16_e32 v146, 0xb5ac, v90
	v_mul_f16_e32 v105, 0x3b15, v57
	;; [unrolled: 1-line block ×3, first 2 shown]
	v_sub_f16_e32 v72, v72, v106
	v_add_f16_e32 v137, v152, v137
	v_add_f16_e32 v142, v142, v24
	v_fmamk_f16 v152, v56, 0x2fb7, v153
	v_mul_f16_e32 v154, 0xba95, v89
	v_fmamk_f16 v156, v61, 0x3b7b, v146
	v_mul_f16_e32 v157, 0xb9fd, v93
	v_mul_f16_e32 v109, 0x388b, v56
	;; [unrolled: 1-line block ×3, first 2 shown]
	v_add_f16_sdwa v72, v72, v24 dst_sel:DWORD dst_unused:UNUSED_PAD src0_sel:DWORD src1_sel:WORD_1
	v_sub_f16_e32 v75, v75, v110
	v_add_f16_e32 v70, v105, v70
	v_add_f16_e32 v142, v152, v142
	v_fmamk_f16 v152, v58, 0x388b, v154
	v_mul_f16_e32 v158, 0x33a8, v96
	v_add_f16_sdwa v156, v156, v24 dst_sel:DWORD dst_unused:UNUSED_PAD src0_sel:DWORD src1_sel:WORD_1
	v_fmamk_f16 v159, v64, 0xb94e, v157
	v_mul_f16_e32 v160, 0x3b15, v99
	v_mul_f16_e32 v114, 0x2fb7, v58
	;; [unrolled: 1-line block ×3, first 2 shown]
	v_add_f16_e32 v72, v75, v72
	v_sub_f16_e32 v75, v79, v115
	v_add_f16_e32 v70, v70, v24
	v_add_f16_e32 v71, v109, v71
	;; [unrolled: 1-line block ×3, first 2 shown]
	v_fmamk_f16 v152, v59, 0xbbc4, v158
	v_mul_f16_e32 v161, 0x3770, v100
	v_add_f16_e32 v156, v159, v156
	v_fmamk_f16 v159, v62, 0xb770, v160
	v_mul_f16_e32 v162, 0x2fb7, v101
	v_mul_f16_e32 v120, 0xb5ac, v59
	;; [unrolled: 1-line block ×3, first 2 shown]
	v_add_f16_e32 v72, v75, v72
	v_sub_f16_e32 v75, v84, v121
	v_fmac_f16_e32 v112, 0xb3a8, v61
	v_add_f16_e32 v70, v71, v70
	v_add_f16_e32 v71, v114, v73
	v_add_f16_e32 v142, v152, v142
	v_fmamk_f16 v152, v60, 0x3b15, v161
	v_mul_f16_e32 v163, 0xbb7b, v102
	v_add_f16_e32 v156, v159, v156
	v_fmamk_f16 v159, v65, 0x3bf1, v162
	v_mul_f16_e32 v164, 0xbbc4, v103
	v_mul_f16_e32 v126, 0xb9fd, v60
	;; [unrolled: 1-line block ×3, first 2 shown]
	v_add_f16_e32 v72, v75, v72
	v_sub_f16_e32 v73, v86, v128
	v_add_f16_sdwa v75, v112, v24 dst_sel:DWORD dst_unused:UNUSED_PAD src0_sel:DWORD src1_sel:WORD_1
	v_fmac_f16_e32 v118, 0x3770, v64
	v_add_f16_e32 v70, v71, v70
	v_add_f16_e32 v71, v120, v76
	;; [unrolled: 1-line block ×3, first 2 shown]
	v_fmamk_f16 v152, v63, 0xb5ac, v163
	v_add_f16_e32 v156, v159, v156
	v_fmamk_f16 v159, v67, 0xb3a8, v164
	v_mul_f16_e32 v166, 0xbb7b, v77
	v_add_f16_e32 v72, v73, v72
	v_add_f16_e32 v73, v118, v75
	v_sub_f16_e32 v75, v92, v133
	v_add_f16_e32 v70, v71, v70
	v_add_f16_e32 v71, v126, v82
	v_fma_f16 v76, v57, 0xbbc4, -v134
	v_add_f16_e32 v142, v152, v142
	v_mul_f16_e32 v90, 0x2fb7, v90
	v_add_f16_e32 v152, v159, v156
	v_fmamk_f16 v156, v57, 0xb5ac, v166
	v_mul_f16_e32 v159, 0x394e, v83
	v_add_f16_e32 v72, v75, v72
	v_add_f16_e32 v70, v71, v70
	;; [unrolled: 1-line block ×3, first 2 shown]
	v_fma_f16 v75, v56, 0x3b15, -v138
	v_mul_f16_e32 v107, 0x388b, v57
	v_fmamk_f16 v167, v61, 0x3bf1, v90
	v_mul_f16_e32 v93, 0xbbc4, v93
	v_add_f16_e32 v156, v156, v24
	v_fmamk_f16 v168, v56, 0xb9fd, v159
	v_mul_f16_e32 v169, 0x3770, v89
	v_add_f16_e32 v71, v75, v71
	v_fma_f16 v75, v58, 0xb9fd, -v141
	v_mul_f16_e32 v111, 0xb5ac, v56
	v_add_f16_e32 v78, v107, v78
	v_add_f16_sdwa v49, v49, v24 dst_sel:DWORD dst_unused:UNUSED_PAD src0_sel:DWORD src1_sel:WORD_1
	v_add_f16_e32 v25, v25, v24
	v_add_f16_sdwa v167, v167, v24 dst_sel:DWORD dst_unused:UNUSED_PAD src0_sel:DWORD src1_sel:WORD_1
	v_fmamk_f16 v170, v64, 0x33a8, v93
	v_mul_f16_e32 v99, 0xb5ac, v99
	v_add_f16_e32 v156, v168, v156
	v_fmamk_f16 v168, v58, 0x3b15, v169
	v_mul_f16_e32 v171, 0xbbf1, v96
	v_add_f16_e32 v71, v75, v71
	v_fma_f16 v75, v59, 0x388b, -v145
	v_mul_f16_e32 v116, 0xbbc4, v58
	v_add_f16_e32 v78, v78, v24
	v_add_f16_e32 v85, v111, v85
	v_add_f16_e32 v48, v48, v49
	v_add_f16_e32 v25, v28, v25
	v_mul_f16_e32 v155, 0xb5ac, v104
	v_add_f16_e32 v167, v170, v167
	v_fmamk_f16 v170, v62, 0xbb7b, v99
	v_mul_f16_e32 v101, 0x3b15, v101
	v_add_f16_e32 v156, v168, v156
	v_fmamk_f16 v168, v59, 0x2fb7, v171
	v_mul_f16_e32 v172, 0x33a8, v100
	v_add_f16_e32 v71, v75, v71
	v_fma_f16 v75, v57, 0xb9fd, -v140
	v_mul_f16_e32 v124, 0xb9fd, v59
	v_add_f16_e32 v78, v85, v78
	v_add_f16_e32 v85, v116, v88
	;; [unrolled: 1-line block ×4, first 2 shown]
	v_fmamk_f16 v165, v68, 0x3b7b, v155
	v_add_f16_e32 v167, v170, v167
	v_fmamk_f16 v170, v65, 0xb770, v101
	v_mul_f16_e32 v103, 0x388b, v103
	v_add_f16_e32 v156, v168, v156
	v_fmamk_f16 v168, v60, 0xbbc4, v172
	v_mul_f16_e32 v173, 0x3a95, v102
	v_add_f16_e32 v75, v75, v24
	v_fma_f16 v82, v56, 0x2fb7, -v153
	v_mul_f16_e32 v129, 0x2fb7, v60
	v_mul_f16_e32 v132, 0xbbc4, v63
	v_add_f16_e32 v78, v85, v78
	v_add_f16_e32 v85, v124, v91
	v_fmac_f16_e32 v139, 0xb94e, v61
	v_add_f16_e32 v48, v52, v48
	v_add_f16_e32 v25, v32, v25
	v_mul_f16_e32 v108, 0xba95, v61
	v_add_f16_e32 v143, v165, v143
	v_mul_f16_e32 v165, 0x388b, v104
	v_add_f16_e32 v167, v170, v167
	v_fmamk_f16 v170, v67, 0x3a95, v103
	v_mul_f16_e32 v104, 0xb9fd, v104
	v_add_f16_e32 v156, v168, v156
	v_fmamk_f16 v168, v63, 0x388b, v173
	v_mul_f16_e32 v77, 0xbbf1, v77
	v_add_f16_e32 v75, v82, v75
	v_fma_f16 v82, v58, 0x388b, -v154
	v_mul_f16_e32 v135, 0x3b15, v63
	v_add_f16_e32 v78, v85, v78
	v_add_f16_e32 v85, v129, v94
	;; [unrolled: 1-line block ×3, first 2 shown]
	v_add_f16_sdwa v81, v139, v24 dst_sel:DWORD dst_unused:UNUSED_PAD src0_sel:DWORD src1_sel:WORD_1
	v_fmac_f16_e32 v144, 0x3bf1, v64
	v_add_f16_e32 v32, v54, v48
	v_add_f16_e32 v25, v33, v25
	v_mul_f16_e32 v113, 0xbb7b, v64
	v_add_f16_e32 v167, v170, v167
	v_fmamk_f16 v170, v68, 0x394e, v104
	v_mul_f16_e32 v83, 0xb3a8, v83
	v_add_f16_e32 v156, v168, v156
	v_fmamk_f16 v168, v57, 0x2fb7, v77
	v_sub_f16_e32 v74, v74, v108
	v_add_f16_e32 v75, v82, v75
	v_fma_f16 v82, v59, 0xbbc4, -v158
	v_add_f16_e32 v78, v85, v78
	v_add_f16_e32 v84, v135, v98
	;; [unrolled: 1-line block ×4, first 2 shown]
	v_fma_f16 v81, v60, 0xb5ac, -v148
	v_add_f16_e32 v32, v55, v32
	v_add_f16_e32 v25, v34, v25
	v_alignbit_b32 v69, v24, v24, 16
	v_mul_f16_e32 v119, 0xb3a8, v62
	v_add_f16_e32 v167, v170, v167
	v_fmamk_f16 v170, v56, 0xbbc4, v83
	v_mul_f16_e32 v89, 0x3b7b, v89
	v_sub_f16_e32 v80, v80, v113
	v_pack_b32_f16 v34, v74, v168
	v_add_f16_e32 v75, v82, v75
	v_fma_f16 v82, v60, 0x3b15, -v161
	v_add_f16_e32 v78, v84, v78
	v_add_f16_e32 v71, v81, v71
	v_fma_f16 v84, v63, 0x2fb7, -v150
	v_add_f16_e32 v32, v53, v32
	v_add_f16_e32 v25, v35, v25
	v_mul_f16_e32 v125, 0x394e, v65
	v_fmamk_f16 v174, v68, 0xba95, v165
	v_mul_f16_e32 v96, 0x3770, v96
	v_fmamk_f16 v107, v58, 0xb5ac, v89
	v_sub_f16_e32 v87, v87, v119
	v_pk_add_f16 v34, v34, v69
	v_pack_b32_f16 v35, v80, v170
	v_fmac_f16_e32 v146, 0xbb7b, v61
	v_add_f16_e32 v75, v82, v75
	v_fma_f16 v82, v57, 0xb5ac, -v166
	v_add_f16_e32 v71, v84, v71
	v_fma_f16 v84, v63, 0xb5ac, -v163
	v_fmac_f16_e32 v90, 0xbbf1, v61
	v_fma_f16 v48, v57, 0x2fb7, -v77
	v_add_f16_e32 v32, v51, v32
	v_add_f16_e32 v25, v30, v25
	v_mul_f16_e32 v130, 0x3bf1, v67
	v_add_f16_e32 v152, v174, v152
	v_mul_f16_e32 v100, 0xba95, v100
	v_mov_b32_e32 v174, 0xb9fd
	v_fmamk_f16 v175, v59, 0x3b15, v96
	v_mul_f16_e32 v102, 0xb94e, v102
	v_sub_f16_e32 v88, v95, v125
	v_pk_add_f16 v30, v35, v34
	v_pack_b32_f16 v34, v87, v107
	v_add_f16_sdwa v81, v146, v24 dst_sel:DWORD dst_unused:UNUSED_PAD src0_sel:DWORD src1_sel:WORD_1
	v_fmac_f16_e32 v157, 0x394e, v64
	v_add_f16_e32 v61, v82, v24
	v_fma_f16 v82, v56, 0xb9fd, -v159
	v_add_f16_e32 v75, v84, v75
	v_add_f16_sdwa v84, v90, v24 dst_sel:DWORD dst_unused:UNUSED_PAD src0_sel:DWORD src1_sel:WORD_1
	v_fmac_f16_e32 v93, 0xb3a8, v64
	v_add_f16_e32 v24, v48, v24
	v_fma_f16 v48, v56, 0xbbc4, -v83
	v_add_f16_e32 v32, v47, v32
	v_add_f16_e32 v25, v31, v25
	v_mul_f16_e32 v136, 0x3770, v68
	v_fmamk_f16 v176, v60, 0x388b, v100
	v_mul_f16_sdwa v174, v63, v174 dst_sel:WORD_1 dst_unused:UNUSED_PAD src0_sel:DWORD src1_sel:DWORD
	v_sub_f16_e32 v79, v97, v130
	v_fmac_f16_e32 v123, 0xb94e, v62
	v_pk_add_f16 v30, v34, v30
	v_pack_b32_f16 v31, v88, v175
	v_lshlrev_b32_e32 v34, 16, v102
	v_fmac_f16_e32 v147, 0xba95, v62
	v_add_f16_e32 v81, v157, v81
	v_fmac_f16_e32 v160, 0x3770, v62
	v_add_f16_e32 v61, v82, v61
	v_fma_f16 v64, v58, 0x3b15, -v169
	v_add_f16_e32 v82, v93, v84
	v_fmac_f16_e32 v99, 0x3b7b, v62
	v_add_f16_e32 v24, v48, v24
	v_fma_f16 v48, v58, 0xb5ac, -v89
	v_add_f16_e32 v32, v46, v32
	v_add_f16_e32 v25, v26, v25
	;; [unrolled: 1-line block ×3, first 2 shown]
	v_fmac_f16_e32 v127, 0x3a95, v65
	v_pk_add_f16 v26, v31, v30
	v_pack_b32_f16 v30, v79, v176
	v_pk_add_f16 v31, v66, v136 neg_lo:[0,1] neg_hi:[0,1]
	v_pk_add_f16 v34, v174, v34
	v_add_f16_e32 v76, v147, v76
	v_fmac_f16_e32 v149, 0x33a8, v65
	v_add_f16_e32 v81, v160, v81
	v_fmac_f16_e32 v162, 0xbbf1, v65
	v_add_f16_e32 v61, v64, v61
	v_fma_f16 v28, v59, 0x2fb7, -v171
	v_add_f16_e32 v49, v99, v82
	v_fmac_f16_e32 v101, 0x3770, v65
	v_add_f16_e32 v24, v48, v24
	v_fma_f16 v35, v59, 0x3b15, -v96
	v_add_f16_e32 v32, v45, v32
	v_add_f16_e32 v25, v27, v25
	;; [unrolled: 1-line block ×3, first 2 shown]
	v_fmac_f16_e32 v131, 0xbb7b, v67
	v_pk_add_f16 v26, v30, v26
	v_bfi_b32 v30, 0xffff, v31, v34
	v_add_f16_e32 v76, v149, v76
	v_fmac_f16_e32 v151, 0x3770, v67
	v_add_f16_e32 v81, v162, v81
	v_fmac_f16_e32 v164, 0x33a8, v67
	v_add_f16_e32 v28, v28, v61
	v_fma_f16 v29, v60, 0xbbc4, -v172
	v_add_f16_e32 v49, v101, v49
	v_fmac_f16_e32 v103, 0xba95, v67
	v_add_f16_e32 v24, v35, v24
	v_fma_f16 v27, v60, 0x388b, -v100
	v_add_f16_sdwa v31, v44, v32 dst_sel:WORD_1 dst_unused:UNUSED_PAD src0_sel:DWORD src1_sel:DWORD
	v_add_f16_e32 v25, v43, v25
	v_mov_b32_e32 v32, 2
	v_add_f16_e32 v73, v131, v73
	v_fmac_f16_e32 v122, 0x3bf1, v68
	v_pk_add_f16 v26, v30, v26
	v_add_f16_e32 v76, v151, v76
	v_fmac_f16_e32 v155, 0xbb7b, v68
	v_add_f16_e32 v81, v164, v81
	v_fmac_f16_e32 v165, 0x3a95, v68
	v_add_f16_e32 v28, v29, v28
	v_fma_f16 v29, v63, 0x388b, -v173
	v_add_f16_e32 v33, v103, v49
	v_fmac_f16_e32 v104, 0xb94e, v68
	v_add_f16_e32 v24, v27, v24
	v_fma_f16 v27, v63, 0xb9fd, -v102
	v_or_b32_sdwa v25, v31, v25 dst_sel:DWORD dst_unused:UNUSED_PAD src0_sel:DWORD src1_sel:WORD_0
	v_lshlrev_b32_sdwa v30, v32, v38 dst_sel:DWORD dst_unused:UNUSED_PAD src0_sel:DWORD src1_sel:WORD_0
	v_pack_b32_f16 v31, v70, v72
	v_add_f16_e32 v73, v122, v73
	v_alignbit_b32 v32, v167, v26, 16
	v_pack_b32_f16 v26, v78, v26
	v_add_f16_e32 v76, v155, v76
	v_add_f16_e32 v81, v165, v81
	;; [unrolled: 1-line block ×5, first 2 shown]
	ds_write2_b32 v30, v25, v31 offset1:1
	ds_write2_b32 v30, v26, v32 offset0:2 offset1:3
	v_pack_b32_f16 v25, v142, v143
	v_pack_b32_f16 v26, v156, v152
	;; [unrolled: 1-line block ×7, first 2 shown]
	v_perm_b32 v29, v41, v23, 0x5040100
	v_perm_b32 v33, v42, v40, 0x5040100
	ds_write2_b32 v30, v26, v25 offset0:4 offset1:5
	ds_write2_b32 v30, v31, v27 offset0:6 offset1:7
	;; [unrolled: 1-line block ×4, first 2 shown]
	ds_write_b32 v30, v33 offset:48
.LBB0_17:
	s_or_b32 exec_lo, exec_lo, s0
	s_waitcnt lgkmcnt(0)
	s_barrier
	buffer_gl0_inv
	v_add_nc_u32_e32 v26, 0x400, v36
	ds_read2_b32 v[24:25], v36 offset1:169
	v_add_nc_u32_e32 v29, 0xa00, v36
	v_add_nc_u32_e32 v31, 0xf00, v36
	;; [unrolled: 1-line block ×3, first 2 shown]
	ds_read2_b32 v[27:28], v26 offset0:82 offset1:251
	ds_read_b32 v35, v36 offset:6760
	ds_read2_b32 v[29:30], v29 offset0:36 offset1:205
	ds_read2_b32 v[31:32], v31 offset0:54 offset1:223
	;; [unrolled: 1-line block ×3, first 2 shown]
	s_waitcnt lgkmcnt(0)
	s_barrier
	buffer_gl0_inv
	v_lshrrev_b32_e32 v38, 16, v25
	v_mul_f16_sdwa v44, v4, v25 dst_sel:DWORD dst_unused:UNUSED_PAD src0_sel:WORD_1 src1_sel:DWORD
	v_lshrrev_b32_e32 v45, 16, v27
	v_lshrrev_b32_e32 v46, 16, v28
	;; [unrolled: 1-line block ×3, first 2 shown]
	v_mul_f16_sdwa v53, v4, v38 dst_sel:DWORD dst_unused:UNUSED_PAD src0_sel:WORD_1 src1_sel:DWORD
	v_lshrrev_b32_e32 v48, 16, v30
	v_fma_f16 v38, v4, v38, -v44
	v_mul_f16_sdwa v44, v5, v27 dst_sel:DWORD dst_unused:UNUSED_PAD src0_sel:WORD_1 src1_sel:DWORD
	v_mul_f16_sdwa v54, v6, v28 dst_sel:DWORD dst_unused:UNUSED_PAD src0_sel:WORD_1 src1_sel:DWORD
	;; [unrolled: 1-line block ×5, first 2 shown]
	v_fmac_f16_e32 v53, v4, v25
	v_mul_f16_sdwa v4, v7, v47 dst_sel:DWORD dst_unused:UNUSED_PAD src0_sel:WORD_1 src1_sel:DWORD
	v_fma_f16 v25, v5, v45, -v44
	v_fmac_f16_e32 v56, v5, v27
	v_fmac_f16_e32 v57, v6, v28
	v_fma_f16 v5, v6, v46, -v54
	v_fmac_f16_e32 v4, v7, v29
	v_fma_f16 v6, v7, v47, -v55
	v_add_f16_e32 v7, v53, v24
	v_mul_f16_sdwa v27, v0, v48 dst_sel:DWORD dst_unused:UNUSED_PAD src0_sel:WORD_1 src1_sel:DWORD
	v_mul_f16_sdwa v28, v0, v30 dst_sel:DWORD dst_unused:UNUSED_PAD src0_sel:WORD_1 src1_sel:DWORD
	v_add_f16_sdwa v44, v38, v24 dst_sel:DWORD dst_unused:UNUSED_PAD src0_sel:DWORD src1_sel:WORD_1
	v_lshrrev_b32_e32 v49, 16, v31
	v_add_f16_e32 v7, v7, v56
	v_fmac_f16_e32 v27, v0, v30
	v_fma_f16 v28, v0, v48, -v28
	v_add_f16_e32 v0, v44, v25
	v_lshrrev_b32_e32 v50, 16, v32
	v_mul_f16_sdwa v29, v1, v49 dst_sel:DWORD dst_unused:UNUSED_PAD src0_sel:WORD_1 src1_sel:DWORD
	v_add_f16_e32 v7, v7, v57
	v_lshrrev_b32_e32 v51, 16, v33
	v_add_f16_e32 v0, v0, v5
	v_lshrrev_b32_e32 v52, 16, v34
	v_fmac_f16_e32 v29, v1, v31
	v_mul_f16_sdwa v30, v1, v31 dst_sel:DWORD dst_unused:UNUSED_PAD src0_sel:WORD_1 src1_sel:DWORD
	v_mul_f16_sdwa v31, v2, v50 dst_sel:DWORD dst_unused:UNUSED_PAD src0_sel:WORD_1 src1_sel:DWORD
	;; [unrolled: 1-line block ×3, first 2 shown]
	v_add_f16_e32 v7, v7, v4
	v_add_f16_e32 v0, v0, v6
	v_lshrrev_b32_e32 v43, 16, v35
	v_fma_f16 v1, v1, v49, -v30
	v_fmac_f16_e32 v31, v2, v32
	v_fma_f16 v2, v2, v50, -v44
	v_add_f16_e32 v7, v7, v27
	v_mul_f16_sdwa v30, v3, v51 dst_sel:DWORD dst_unused:UNUSED_PAD src0_sel:WORD_1 src1_sel:DWORD
	v_mul_f16_sdwa v32, v3, v33 dst_sel:DWORD dst_unused:UNUSED_PAD src0_sel:WORD_1 src1_sel:DWORD
	;; [unrolled: 1-line block ×3, first 2 shown]
	v_add_f16_e32 v0, v0, v28
	v_add_f16_e32 v7, v7, v29
	v_fmac_f16_e32 v30, v3, v33
	v_fma_f16 v3, v3, v51, -v32
	v_fmac_f16_e32 v44, v21, v34
	v_add_f16_e32 v0, v0, v1
	v_mul_f16_sdwa v32, v21, v34 dst_sel:DWORD dst_unused:UNUSED_PAD src0_sel:WORD_1 src1_sel:DWORD
	v_mul_f16_sdwa v33, v22, v43 dst_sel:DWORD dst_unused:UNUSED_PAD src0_sel:WORD_1 src1_sel:DWORD
	;; [unrolled: 1-line block ×3, first 2 shown]
	v_add_f16_e32 v7, v7, v31
	v_add_f16_e32 v0, v0, v2
	v_fma_f16 v21, v21, v52, -v32
	v_fmac_f16_e32 v33, v22, v35
	v_fma_f16 v22, v22, v43, -v34
	v_add_f16_e32 v7, v7, v30
	v_add_f16_e32 v0, v0, v3
	v_sub_f16_e32 v60, v25, v21
	v_add_f16_e32 v35, v53, v33
	v_sub_f16_e32 v32, v38, v22
	v_add_f16_e32 v7, v7, v44
	v_add_f16_e32 v0, v0, v21
	;; [unrolled: 1-line block ×4, first 2 shown]
	v_mul_f16_e32 v38, 0xb853, v32
	v_add_f16_e32 v7, v7, v33
	v_add_f16_sdwa v0, v0, v22 dst_sel:WORD_1 dst_unused:UNUSED_PAD src0_sel:DWORD src1_sel:DWORD
	v_sub_f16_e32 v22, v53, v33
	v_mul_f16_e32 v33, 0x3abb, v34
	v_fmamk_f16 v43, v35, 0x3abb, v38
	v_mul_f16_e32 v45, 0xbb47, v32
	v_mul_f16_e32 v47, 0x36a6, v34
	;; [unrolled: 1-line block ×9, first 2 shown]
	v_add_f16_e32 v21, v25, v21
	v_or_b32_sdwa v0, v0, v7 dst_sel:DWORD dst_unused:UNUSED_PAD src0_sel:DWORD src1_sel:WORD_0
	v_fmamk_f16 v7, v22, 0x3853, v33
	v_add_f16_e32 v43, v43, v24
	v_fma_f16 v38, v35, 0x3abb, -v38
	v_fmac_f16_e32 v33, 0xb853, v22
	v_fmamk_f16 v46, v35, 0x36a6, v45
	v_fmamk_f16 v49, v22, 0x3b47, v47
	v_fma_f16 v45, v35, 0x36a6, -v45
	v_fmac_f16_e32 v47, 0xbb47, v22
	v_fmamk_f16 v50, v35, 0xb08e, v48
	v_fmamk_f16 v52, v22, 0x3beb, v51
	;; [unrolled: 4-line block ×4, first 2 shown]
	v_fma_f16 v25, v35, 0xbbad, -v32
	v_fmac_f16_e32 v34, 0xb482, v22
	v_sub_f16_e32 v22, v56, v44
	v_fmamk_f16 v32, v62, 0x36a6, v63
	v_mul_f16_e32 v35, 0x36a6, v21
	v_add_f16_sdwa v7, v7, v24 dst_sel:DWORD dst_unused:UNUSED_PAD src0_sel:DWORD src1_sel:WORD_1
	v_add_f16_e32 v38, v38, v24
	v_add_f16_sdwa v33, v33, v24 dst_sel:DWORD dst_unused:UNUSED_PAD src0_sel:DWORD src1_sel:WORD_1
	v_add_f16_e32 v46, v46, v24
	;; [unrolled: 2-line block ×10, first 2 shown]
	v_fmamk_f16 v34, v22, 0x3b47, v35
	v_mul_f16_e32 v43, 0xba0c, v60
	v_fma_f16 v56, v62, 0x36a6, -v63
	v_fmac_f16_e32 v35, 0xbb47, v22
	v_mul_f16_e32 v61, 0xb93d, v21
	v_add_f16_e32 v7, v34, v7
	v_fmamk_f16 v34, v62, 0xb93d, v43
	v_add_f16_e32 v38, v56, v38
	v_add_f16_e32 v33, v35, v33
	v_fmamk_f16 v35, v22, 0x3a0c, v61
	v_mul_f16_e32 v56, 0x3482, v60
	v_add_f16_e32 v34, v34, v46
	v_fma_f16 v43, v62, 0xb93d, -v43
	v_fmac_f16_e32 v61, 0xba0c, v22
	v_add_f16_e32 v35, v35, v49
	v_fmamk_f16 v46, v62, 0xbbad, v56
	v_mul_f16_e32 v49, 0xbbad, v21
	v_add_f16_e32 v43, v43, v45
	v_add_f16_e32 v45, v61, v47
	v_mul_f16_e32 v47, 0x3beb, v60
	v_add_f16_e32 v46, v46, v50
	v_fmamk_f16 v50, v22, 0xb482, v49
	v_mul_f16_e32 v63, 0xb08e, v21
	v_mul_f16_e32 v21, 0x3abb, v21
	v_fmamk_f16 v61, v62, 0xb08e, v47
	v_fma_f16 v47, v62, 0xb08e, -v47
	v_add_f16_e32 v50, v50, v52
	v_fmamk_f16 v52, v22, 0xbbeb, v63
	v_fmac_f16_e32 v63, 0x3beb, v22
	v_fmac_f16_e32 v49, 0x3482, v22
	v_add_f16_e32 v47, v47, v53
	v_fma_f16 v56, v62, 0xbbad, -v56
	v_add_f16_e32 v52, v52, v58
	v_fmamk_f16 v58, v22, 0xb853, v21
	v_add_f16_e32 v53, v63, v54
	v_sub_f16_e32 v54, v5, v3
	v_add_f16_e32 v49, v49, v51
	v_add_f16_e32 v51, v61, v55
	v_mul_f16_e32 v55, 0x3853, v60
	v_add_f16_e32 v44, v58, v44
	v_add_f16_e32 v58, v57, v30
	;; [unrolled: 1-line block ×3, first 2 shown]
	v_mul_f16_e32 v5, 0xbbeb, v54
	v_fmac_f16_e32 v21, 0x3853, v22
	v_add_f16_e32 v48, v56, v48
	v_fmamk_f16 v56, v62, 0x3abb, v55
	v_fma_f16 v55, v62, 0x3abb, -v55
	v_sub_f16_e32 v22, v57, v30
	v_mul_f16_e32 v30, 0xb08e, v3
	v_fmamk_f16 v57, v58, 0xb08e, v5
	v_add_f16_e32 v21, v21, v24
	v_mul_f16_e32 v24, 0x3482, v54
	v_add_f16_e32 v25, v55, v25
	v_fmamk_f16 v55, v22, 0x3beb, v30
	v_add_f16_e32 v32, v57, v32
	v_fmac_f16_e32 v30, 0xbbeb, v22
	v_fmamk_f16 v57, v58, 0xbbad, v24
	v_fma_f16 v5, v58, 0xb08e, -v5
	v_add_f16_e32 v7, v55, v7
	v_mul_f16_e32 v55, 0xbbad, v3
	v_add_f16_e32 v30, v30, v33
	v_add_f16_e32 v33, v57, v34
	v_mul_f16_e32 v34, 0x3b47, v54
	v_fma_f16 v24, v58, 0xbbad, -v24
	v_mul_f16_e32 v57, 0x36a6, v3
	v_add_f16_e32 v56, v56, v59
	v_add_f16_e32 v5, v5, v38
	v_fmamk_f16 v38, v22, 0xb482, v55
	v_fmac_f16_e32 v55, 0x3482, v22
	v_fmamk_f16 v59, v58, 0x36a6, v34
	v_add_f16_e32 v24, v24, v43
	v_fmamk_f16 v43, v22, 0xbb47, v57
	v_add_f16_e32 v35, v38, v35
	v_add_f16_e32 v38, v55, v45
	;; [unrolled: 1-line block ×3, first 2 shown]
	v_mul_f16_e32 v46, 0xb853, v54
	v_fma_f16 v34, v58, 0x36a6, -v34
	v_fmac_f16_e32 v57, 0x3b47, v22
	v_add_f16_e32 v43, v43, v50
	v_mul_f16_e32 v50, 0x3abb, v3
	v_fmamk_f16 v55, v58, 0x3abb, v46
	v_add_f16_e32 v34, v34, v48
	v_add_f16_e32 v48, v57, v49
	v_mul_f16_e32 v49, 0xba0c, v54
	v_fmamk_f16 v54, v22, 0x3853, v50
	v_fma_f16 v46, v58, 0x3abb, -v46
	v_fmac_f16_e32 v50, 0xb853, v22
	v_add_f16_e32 v51, v55, v51
	v_fmamk_f16 v55, v58, 0xb93d, v49
	v_mul_f16_e32 v3, 0xb93d, v3
	v_add_f16_e32 v46, v46, v47
	v_add_f16_e32 v47, v50, v53
	v_sub_f16_e32 v53, v6, v2
	v_add_f16_e32 v2, v6, v2
	v_add_f16_e32 v52, v54, v52
	;; [unrolled: 1-line block ×3, first 2 shown]
	v_fmamk_f16 v54, v22, 0x3a0c, v3
	v_fma_f16 v49, v58, 0xb93d, -v49
	v_add_f16_e32 v6, v4, v31
	v_mul_f16_e32 v55, 0xba0c, v53
	v_fmac_f16_e32 v3, 0xba0c, v22
	v_sub_f16_e32 v4, v4, v31
	v_mul_f16_e32 v22, 0xb93d, v2
	v_add_f16_e32 v31, v54, v44
	v_fmamk_f16 v44, v6, 0xb93d, v55
	v_add_f16_e32 v25, v49, v25
	v_add_f16_e32 v3, v3, v21
	v_fmamk_f16 v21, v4, 0x3a0c, v22
	v_mul_f16_e32 v49, 0x3beb, v53
	v_fmac_f16_e32 v22, 0xba0c, v4
	v_add_f16_e32 v32, v44, v32
	v_fma_f16 v44, v6, 0xb93d, -v55
	v_add_f16_e32 v7, v21, v7
	v_fmamk_f16 v21, v6, 0xb08e, v49
	v_mul_f16_e32 v54, 0xb08e, v2
	v_add_f16_e32 v30, v22, v30
	v_mul_f16_e32 v22, 0xb853, v53
	v_add_f16_e32 v5, v44, v5
	v_add_f16_e32 v21, v21, v33
	v_fmamk_f16 v33, v4, 0xbbeb, v54
	v_fma_f16 v44, v6, 0xb08e, -v49
	v_fmamk_f16 v49, v6, 0x3abb, v22
	v_mul_f16_e32 v55, 0x3abb, v2
	v_fma_f16 v22, v6, 0x3abb, -v22
	v_add_f16_e32 v33, v33, v35
	v_add_f16_e32 v35, v44, v24
	v_add_f16_e32 v44, v49, v45
	v_fmamk_f16 v24, v4, 0x3853, v55
	v_mul_f16_e32 v45, 0xb482, v53
	v_mul_f16_e32 v49, 0xbbad, v2
	v_fmac_f16_e32 v54, 0x3beb, v4
	v_add_f16_e32 v34, v22, v34
	v_add_f16_e32 v43, v24, v43
	v_fmamk_f16 v24, v6, 0xbbad, v45
	v_fmamk_f16 v22, v4, 0x3482, v49
	v_mul_f16_e32 v53, 0x3b47, v53
	v_fmac_f16_e32 v49, 0xb482, v4
	v_add_f16_e32 v38, v54, v38
	v_add_f16_e32 v51, v24, v51
	v_fma_f16 v24, v6, 0xbbad, -v45
	v_add_f16_e32 v45, v22, v52
	v_fmamk_f16 v22, v6, 0x36a6, v53
	v_mul_f16_e32 v2, 0x36a6, v2
	v_add_f16_e32 v47, v49, v47
	v_sub_f16_e32 v49, v28, v1
	v_add_f16_e32 v54, v28, v1
	v_fmac_f16_e32 v55, 0xb853, v4
	v_add_f16_e32 v46, v24, v46
	v_add_f16_e32 v50, v22, v50
	v_fmamk_f16 v22, v4, 0xbb47, v2
	v_add_f16_e32 v52, v27, v29
	v_mul_f16_e32 v24, 0xb482, v49
	v_fmac_f16_e32 v2, 0x3b47, v4
	v_sub_f16_e32 v27, v27, v29
	v_mul_f16_e32 v4, 0xbbad, v54
	v_add_f16_e32 v48, v55, v48
	v_fma_f16 v1, v6, 0x36a6, -v53
	v_fmamk_f16 v6, v52, 0xbbad, v24
	v_add_f16_e32 v55, v2, v3
	v_fmamk_f16 v2, v27, 0x3482, v4
	v_mul_f16_e32 v3, 0x3853, v49
	v_add_f16_e32 v53, v1, v25
	v_add_f16_e32 v1, v6, v32
	v_fma_f16 v6, v52, 0xbbad, -v24
	v_fmac_f16_e32 v4, 0xb482, v27
	v_add_f16_e32 v28, v2, v7
	v_mul_f16_e32 v2, 0x3abb, v54
	v_fmamk_f16 v7, v52, 0x3abb, v3
	v_add_f16_e32 v29, v22, v31
	v_add_f16_e32 v22, v6, v5
	;; [unrolled: 1-line block ×3, first 2 shown]
	v_mul_f16_e32 v4, 0xba0c, v49
	v_fmamk_f16 v5, v27, 0xb853, v2
	v_add_f16_e32 v24, v7, v21
	v_fma_f16 v3, v52, 0x3abb, -v3
	v_fmac_f16_e32 v2, 0x3853, v27
	v_mul_f16_e32 v7, 0xb93d, v54
	v_fmamk_f16 v6, v52, 0xb93d, v4
	v_add_f16_e32 v30, v5, v33
	v_add_f16_e32 v5, v3, v35
	;; [unrolled: 1-line block ×3, first 2 shown]
	v_mul_f16_e32 v2, 0x3b47, v49
	v_fmamk_f16 v3, v27, 0x3a0c, v7
	v_fmac_f16_e32 v7, 0xba0c, v27
	v_mul_f16_e32 v21, 0x36a6, v54
	v_add_f16_e32 v25, v6, v44
	v_fmamk_f16 v6, v52, 0x36a6, v2
	v_add_f16_e32 v31, v3, v43
	v_add_f16_e32 v38, v7, v48
	v_fmamk_f16 v3, v27, 0xbb47, v21
	v_fma_f16 v2, v52, 0x36a6, -v2
	v_mul_f16_e32 v7, 0xbbeb, v49
	v_mul_f16_e32 v35, 0xb08e, v54
	v_fma_f16 v4, v52, 0xb93d, -v4
	v_fmac_f16_e32 v21, 0x3b47, v27
	v_add_f16_e32 v44, v3, v45
	v_add_f16_e32 v3, v2, v46
	v_fmamk_f16 v2, v52, 0xb08e, v7
	v_fmamk_f16 v43, v27, 0x3beb, v35
	v_fma_f16 v45, v52, 0xb08e, -v7
	v_fmac_f16_e32 v35, 0xbbeb, v27
	v_add_f16_e32 v4, v4, v34
	v_add_f16_e32 v34, v21, v47
	v_pack_b32_f16 v21, v1, v28
	v_add_f16_e32 v6, v6, v51
	v_add_f16_e32 v7, v2, v50
	;; [unrolled: 1-line block ×5, first 2 shown]
	ds_write2_b32 v39, v0, v21 offset1:13
	v_pack_b32_f16 v21, v24, v30
	v_pack_b32_f16 v27, v25, v31
	;; [unrolled: 1-line block ×9, first 2 shown]
	ds_write2_b32 v39, v21, v27 offset0:26 offset1:39
	ds_write2_b32 v39, v29, v45 offset0:52 offset1:65
	;; [unrolled: 1-line block ×4, first 2 shown]
	ds_write_b32 v39, v50 offset:520
	s_waitcnt lgkmcnt(0)
	s_barrier
	buffer_gl0_inv
	s_and_saveexec_b32 s0, vcc_lo
	s_cbranch_execz .LBB0_19
; %bb.18:
	v_add_nc_u32_e32 v2, 0x800, v36
	v_add_nc_u32_e32 v3, 0xc00, v36
	;; [unrolled: 1-line block ×4, first 2 shown]
	ds_read2_b32 v[0:1], v36 offset1:143
	ds_read2_b32 v[24:25], v26 offset0:30 offset1:173
	ds_read2_b32 v[6:7], v2 offset0:60 offset1:203
	;; [unrolled: 1-line block ×5, first 2 shown]
	ds_read_b32 v40, v36 offset:6864
	s_waitcnt lgkmcnt(6)
	v_lshrrev_b32_e32 v28, 16, v1
	s_waitcnt lgkmcnt(5)
	v_lshrrev_b32_e32 v30, 16, v24
	v_lshrrev_b32_e32 v31, 16, v25
	s_waitcnt lgkmcnt(4)
	v_lshrrev_b32_e32 v44, 16, v6
	;; [unrolled: 3-line block ×6, first 2 shown]
.LBB0_19:
	s_or_b32 exec_lo, exec_lo, s0
	s_and_saveexec_b32 s0, vcc_lo
	s_cbranch_execz .LBB0_21
; %bb.20:
	v_mul_f16_sdwa v26, v19, v40 dst_sel:DWORD dst_unused:UNUSED_PAD src0_sel:WORD_1 src1_sel:DWORD
	v_mul_f16_sdwa v29, v12, v1 dst_sel:DWORD dst_unused:UNUSED_PAD src0_sel:WORD_1 src1_sel:DWORD
	;; [unrolled: 1-line block ×5, first 2 shown]
	v_fma_f16 v26, v19, v42, -v26
	v_fma_f16 v29, v12, v28, -v29
	v_mul_f16_sdwa v42, v13, v24 dst_sel:DWORD dst_unused:UNUSED_PAD src0_sel:WORD_1 src1_sel:DWORD
	v_fmac_f16_e32 v27, v12, v1
	v_fmac_f16_e32 v21, v19, v40
	v_mul_f16_sdwa v28, v13, v30 dst_sel:DWORD dst_unused:UNUSED_PAD src0_sel:WORD_1 src1_sel:DWORD
	v_add_f16_e32 v45, v26, v29
	v_fma_f16 v1, v18, v41, -v39
	v_fma_f16 v30, v13, v30, -v42
	v_mul_f16_sdwa v12, v18, v41 dst_sel:DWORD dst_unused:UNUSED_PAD src0_sel:WORD_1 src1_sel:DWORD
	v_sub_f16_e32 v19, v27, v21
	v_mul_f16_e32 v46, 0xbbc4, v45
	v_mul_f16_sdwa v40, v14, v25 dst_sel:DWORD dst_unused:UNUSED_PAD src0_sel:WORD_1 src1_sel:DWORD
	v_add_f16_e32 v47, v1, v30
	v_fmac_f16_e32 v28, v13, v24
	v_fmac_f16_e32 v12, v18, v23
	v_mul_f16_sdwa v39, v17, v22 dst_sel:DWORD dst_unused:UNUSED_PAD src0_sel:WORD_1 src1_sel:DWORD
	v_fmamk_f16 v41, v19, 0x33a8, v46
	v_fma_f16 v24, v14, v31, -v40
	v_mul_f16_sdwa v31, v14, v31 dst_sel:DWORD dst_unused:UNUSED_PAD src0_sel:WORD_1 src1_sel:DWORD
	v_mul_f16_sdwa v18, v17, v32 dst_sel:DWORD dst_unused:UNUSED_PAD src0_sel:WORD_1 src1_sel:DWORD
	v_mul_f16_e32 v48, 0x3b15, v47
	v_sub_f16_e32 v23, v28, v12
	v_fma_f16 v13, v17, v32, -v39
	v_fmac_f16_e32 v31, v14, v25
	v_fmac_f16_e32 v18, v17, v22
	v_add_f16_sdwa v17, v41, v0 dst_sel:DWORD dst_unused:UNUSED_PAD src0_sel:DWORD src1_sel:WORD_1
	v_fmamk_f16 v22, v23, 0xb770, v48
	v_mul_f16_sdwa v25, v16, v5 dst_sel:DWORD dst_unused:UNUSED_PAD src0_sel:WORD_1 src1_sel:DWORD
	v_mul_f16_sdwa v32, v15, v6 dst_sel:DWORD dst_unused:UNUSED_PAD src0_sel:WORD_1 src1_sel:DWORD
	v_add_f16_e32 v49, v13, v24
	v_mul_f16_sdwa v41, v8, v7 dst_sel:DWORD dst_unused:UNUSED_PAD src0_sel:WORD_1 src1_sel:DWORD
	v_add_f16_e32 v39, v22, v17
	v_fma_f16 v17, v16, v33, -v25
	v_fma_f16 v25, v15, v44, -v32
	v_mul_f16_sdwa v32, v15, v44 dst_sel:DWORD dst_unused:UNUSED_PAD src0_sel:WORD_1 src1_sel:DWORD
	v_mul_f16_sdwa v22, v16, v33 dst_sel:DWORD dst_unused:UNUSED_PAD src0_sel:WORD_1 src1_sel:DWORD
	;; [unrolled: 1-line block ×3, first 2 shown]
	v_mul_f16_e32 v50, 0xb9fd, v49
	v_sub_f16_e32 v14, v31, v18
	v_add_f16_e32 v51, v17, v25
	v_fmac_f16_e32 v32, v15, v6
	v_fmac_f16_e32 v22, v16, v5
	v_fma_f16 v6, v11, v38, -v33
	v_fma_f16 v16, v8, v43, -v41
	v_mul_f16_sdwa v33, v8, v43 dst_sel:DWORD dst_unused:UNUSED_PAD src0_sel:WORD_1 src1_sel:DWORD
	v_mul_f16_sdwa v15, v11, v38 dst_sel:DWORD dst_unused:UNUSED_PAD src0_sel:WORD_1 src1_sel:DWORD
	v_fmamk_f16 v40, v14, 0x394e, v50
	v_mul_f16_e32 v52, 0x388b, v51
	v_sub_f16_e32 v5, v32, v22
	v_add_f16_e32 v53, v6, v16
	v_fmac_f16_e32 v33, v8, v7
	v_fmac_f16_e32 v15, v11, v4
	v_add_f16_e32 v7, v40, v39
	v_fmamk_f16 v8, v5, 0xba95, v52
	v_mul_f16_e32 v54, 0xb5ac, v53
	v_mul_f16_sdwa v11, v10, v3 dst_sel:DWORD dst_unused:UNUSED_PAD src0_sel:WORD_1 src1_sel:DWORD
	v_sub_f16_e32 v4, v33, v15
	v_mul_f16_sdwa v38, v9, v2 dst_sel:DWORD dst_unused:UNUSED_PAD src0_sel:WORD_1 src1_sel:DWORD
	v_add_f16_e32 v8, v8, v7
	v_sub_f16_e32 v55, v29, v26
	v_fma_f16 v7, v10, v34, -v11
	v_fmamk_f16 v39, v4, 0x3b7b, v54
	v_fma_f16 v11, v9, v35, -v38
	v_sub_f16_e32 v58, v30, v1
	v_mul_f16_e32 v56, 0xb3a8, v55
	v_mul_f16_sdwa v38, v9, v35 dst_sel:DWORD dst_unused:UNUSED_PAD src0_sel:WORD_1 src1_sel:DWORD
	v_add_f16_e32 v39, v39, v8
	v_add_f16_e32 v8, v21, v27
	v_mul_f16_sdwa v35, v10, v34 dst_sel:DWORD dst_unused:UNUSED_PAD src0_sel:WORD_1 src1_sel:DWORD
	v_add_f16_e32 v57, v7, v11
	v_add_f16_e32 v34, v12, v28
	v_mul_f16_e32 v59, 0x3770, v58
	v_fmamk_f16 v40, v8, 0xbbc4, v56
	v_fmac_f16_e32 v38, v9, v2
	v_sub_f16_e32 v60, v24, v13
	v_fmac_f16_e32 v35, v10, v3
	v_fmamk_f16 v10, v34, 0x3b15, v59
	v_add_f16_e32 v2, v40, v0
	v_add_f16_e32 v9, v18, v31
	v_mul_f16_e32 v61, 0xb94e, v60
	v_mul_f16_e32 v62, 0x2fb7, v57
	v_sub_f16_e32 v63, v25, v17
	v_sub_f16_e32 v3, v38, v35
	v_add_f16_e32 v2, v10, v2
	v_fmamk_f16 v40, v9, 0xb9fd, v61
	v_add_f16_e32 v10, v22, v32
	v_mul_f16_e32 v64, 0x3a95, v63
	v_fmamk_f16 v41, v3, 0xbbf1, v62
	v_sub_f16_e32 v65, v16, v6
	v_add_f16_e32 v40, v40, v2
	v_sub_f16_e32 v68, v11, v7
	v_fmamk_f16 v42, v10, 0x388b, v64
	v_add_f16_e32 v2, v41, v39
	v_add_f16_e32 v39, v15, v33
	v_mul_f16_e32 v67, 0xbb7b, v65
	v_mul_f16_e32 v70, 0x3bf1, v68
	v_add_f16_e32 v41, v42, v40
	v_add_f16_e32 v40, v35, v38
	v_mul_f16_e32 v72, 0xb94e, v55
	v_fmamk_f16 v43, v39, 0xb5ac, v67
	v_mul_f16_e32 v74, 0x3bf1, v58
	v_mul_f16_e32 v77, 0xba95, v60
	;; [unrolled: 1-line block ×4, first 2 shown]
	v_add_f16_e32 v41, v43, v41
	v_fmamk_f16 v43, v40, 0x2fb7, v70
	v_fmamk_f16 v76, v34, 0x2fb7, v74
	v_mul_f16_e32 v83, 0xbb7b, v68
	v_mul_f16_e32 v86, 0xbb7b, v55
	;; [unrolled: 1-line block ×3, first 2 shown]
	v_add_f16_e32 v41, v43, v41
	v_fmamk_f16 v43, v8, 0xb9fd, v72
	v_mul_f16_e32 v91, 0x3770, v60
	v_mul_f16_e32 v93, 0xbbf1, v63
	v_fmamk_f16 v90, v34, 0xb9fd, v88
	v_mul_f16_e32 v95, 0x33a8, v65
	v_add_f16_e32 v43, v43, v0
	v_mul_f16_e32 v97, 0x3a95, v68
	v_mul_f16_e32 v100, 0xbbf1, v55
	;; [unrolled: 1-line block ×4, first 2 shown]
	v_add_f16_e32 v43, v76, v43
	v_fmamk_f16 v76, v9, 0x388b, v77
	v_mul_f16_e32 v66, 0xb9fd, v45
	v_fmamk_f16 v104, v34, 0xbbc4, v102
	v_mul_f16_e32 v107, 0x3770, v63
	v_mul_f16_e32 v69, 0x2fb7, v47
	v_add_f16_e32 v43, v76, v43
	v_fmamk_f16 v76, v10, 0xbbc4, v79
	v_fmamk_f16 v42, v19, 0x394e, v66
	v_mul_f16_e32 v109, 0xba95, v65
	v_fmamk_f16 v44, v23, 0xbbf1, v69
	v_mul_f16_e32 v71, 0x388b, v49
	v_add_f16_e32 v43, v76, v43
	v_fmamk_f16 v76, v39, 0x3b15, v81
	v_add_f16_sdwa v42, v42, v0 dst_sel:DWORD dst_unused:UNUSED_PAD src0_sel:DWORD src1_sel:WORD_1
	v_mul_f16_e32 v111, 0xb94e, v68
	v_mul_f16_e32 v73, 0xbbc4, v51
	;; [unrolled: 1-line block ×3, first 2 shown]
	v_add_f16_e32 v43, v76, v43
	v_fmamk_f16 v76, v40, 0xb5ac, v83
	v_add_f16_e32 v42, v44, v42
	v_fmamk_f16 v44, v14, 0x3a95, v71
	v_mul_f16_e32 v75, 0x3b15, v53
	v_mul_f16_e32 v116, 0xbb7b, v58
	v_add_f16_e32 v43, v76, v43
	v_fmamk_f16 v76, v8, 0xb5ac, v86
	v_add_f16_e32 v42, v44, v42
	v_fmamk_f16 v44, v5, 0xb3a8, v73
	v_mul_f16_e32 v78, 0xb5ac, v57
	v_fmamk_f16 v118, v34, 0xb5ac, v116
	v_add_f16_e32 v76, v76, v0
	v_mul_f16_e32 v119, 0xb3a8, v60
	v_add_f16_e32 v42, v44, v42
	v_fmamk_f16 v44, v4, 0xb770, v75
	v_mul_f16_e32 v80, 0xb5ac, v45
	v_add_f16_e32 v76, v90, v76
	v_fmamk_f16 v90, v9, 0x3b15, v91
	;; [unrolled: 3-line block ×5, first 2 shown]
	v_fmamk_f16 v84, v23, 0xb94e, v82
	v_add_f16_e32 v76, v90, v76
	v_fmamk_f16 v90, v39, 0xbbc4, v95
	v_mul_f16_e32 v85, 0x3b15, v49
	v_add_f16_sdwa v44, v44, v0 dst_sel:DWORD dst_unused:UNUSED_PAD src0_sel:DWORD src1_sel:WORD_1
	v_mul_f16_e32 v123, 0x3770, v68
	v_mul_f16_e32 v87, 0x2fb7, v51
	v_add_f16_e32 v76, v90, v76
	v_fmamk_f16 v90, v40, 0x388b, v97
	v_add_f16_e32 v44, v84, v44
	v_fmamk_f16 v84, v14, 0xb770, v85
	v_mul_f16_e32 v55, 0xb770, v55
	v_mul_f16_e32 v89, 0xbbc4, v53
	v_add_f16_e32 v76, v90, v76
	v_fmamk_f16 v90, v8, 0x2fb7, v100
	v_add_f16_e32 v44, v84, v44
	v_fmamk_f16 v84, v5, 0x3bf1, v87
	v_mul_f16_e32 v58, 0xba95, v58
	v_mul_f16_e32 v92, 0x388b, v57
	v_add_f16_e32 v90, v90, v0
	v_mul_f16_e32 v60, 0xbbf1, v60
	v_add_f16_e32 v44, v84, v44
	v_fmamk_f16 v84, v4, 0xb3a8, v89
	v_fmamk_f16 v125, v34, 0x388b, v58
	v_add_f16_e32 v90, v104, v90
	v_fmamk_f16 v104, v9, 0xb5ac, v105
	v_mul_f16_e32 v94, 0x2fb7, v45
	v_add_f16_e32 v44, v84, v44
	v_fmamk_f16 v84, v3, 0xba95, v92
	v_mul_f16_e32 v63, 0xbb7b, v63
	v_add_f16_e32 v90, v104, v90
	v_fmamk_f16 v104, v10, 0x3b15, v107
	v_fmac_f16_e32 v46, 0xb3a8, v19
	v_add_f16_e32 v44, v84, v44
	v_fmamk_f16 v84, v19, 0x3bf1, v94
	v_mul_f16_e32 v96, 0xbbc4, v47
	v_add_f16_e32 v90, v104, v90
	v_fmamk_f16 v104, v39, 0x388b, v109
	v_add_f16_sdwa v46, v46, v0 dst_sel:DWORD dst_unused:UNUSED_PAD src0_sel:DWORD src1_sel:WORD_1
	v_fmac_f16_e32 v48, 0x3770, v23
	v_mul_f16_e32 v65, 0xb94e, v65
	v_fma_f16 v56, v8, 0xbbc4, -v56
	v_add_f16_e32 v90, v104, v90
	v_fmamk_f16 v104, v40, 0xb9fd, v111
	v_add_f16_sdwa v84, v84, v0 dst_sel:DWORD dst_unused:UNUSED_PAD src0_sel:DWORD src1_sel:WORD_1
	v_fmamk_f16 v98, v23, 0x33a8, v96
	v_mul_f16_e32 v99, 0xb5ac, v49
	v_add_f16_e32 v46, v48, v46
	v_add_f16_e32 v90, v104, v90
	v_fmamk_f16 v104, v8, 0x388b, v114
	v_fmac_f16_e32 v50, 0xb94e, v14
	v_fmamk_f16 v48, v39, 0xb9fd, v65
	v_mul_f16_e32 v68, 0xb3a8, v68
	v_add_f16_e32 v56, v56, v0
	v_add_f16_e32 v104, v104, v0
	v_fma_f16 v59, v34, 0x3b15, -v59
	v_add_f16_e32 v84, v98, v84
	v_fmamk_f16 v98, v14, 0xbb7b, v99
	v_mul_f16_e32 v101, 0x3b15, v51
	v_add_f16_e32 v104, v118, v104
	v_fmamk_f16 v118, v9, 0xbbc4, v119
	v_add_f16_e32 v46, v50, v46
	v_fmac_f16_e32 v52, 0x3a95, v5
	v_fmamk_f16 v50, v40, 0xbbc4, v68
	v_add_f16_e32 v56, v59, v56
	v_add_f16_e32 v104, v118, v104
	v_fmamk_f16 v118, v10, 0xb9fd, v121
	v_fma_f16 v59, v9, 0xb9fd, -v61
	v_add_f16_e32 v84, v98, v84
	v_fmamk_f16 v98, v5, 0xb770, v101
	v_mul_f16_e32 v103, 0x388b, v53
	v_add_f16_e32 v104, v118, v104
	v_fmamk_f16 v118, v39, 0x2fb7, v122
	v_add_f16_e32 v46, v52, v46
	v_fma_f16 v52, v10, 0x388b, -v64
	v_add_f16_e32 v84, v98, v84
	v_fmamk_f16 v98, v4, 0x3a95, v103
	v_add_f16_e32 v104, v118, v104
	v_fmamk_f16 v118, v40, 0x3b15, v123
	v_mul_f16_e32 v106, 0xb9fd, v57
	v_mul_f16_e32 v108, 0x388b, v45
	v_add_f16_e32 v84, v98, v84
	v_mul_f16_e32 v110, 0xb5ac, v47
	v_add_f16_e32 v104, v118, v104
	v_fmamk_f16 v118, v8, 0x3b15, v55
	v_fmamk_f16 v98, v3, 0x394e, v106
	v_mul_f16_e32 v113, 0xbbc4, v49
	v_fmamk_f16 v112, v23, 0x3b7b, v110
	v_add_f16_sdwa v29, v29, v0 dst_sel:DWORD dst_unused:UNUSED_PAD src0_sel:DWORD src1_sel:WORD_1
	v_add_f16_e32 v118, v118, v0
	v_add_f16_e32 v84, v98, v84
	v_fmamk_f16 v98, v19, 0x3a95, v108
	v_add_f16_e32 v27, v27, v0
	v_fmac_f16_e32 v54, 0xbb7b, v4
	v_add_f16_e32 v118, v125, v118
	v_fmamk_f16 v125, v9, 0x2fb7, v60
	v_add_f16_sdwa v98, v98, v0 dst_sel:DWORD dst_unused:UNUSED_PAD src0_sel:DWORD src1_sel:WORD_1
	v_mul_f16_e32 v115, 0xb9fd, v51
	v_add_f16_e32 v29, v30, v29
	v_add_f16_e32 v27, v28, v27
	;; [unrolled: 1-line block ×3, first 2 shown]
	v_fmamk_f16 v125, v10, 0xb5ac, v63
	v_add_f16_e32 v98, v112, v98
	v_fmamk_f16 v112, v14, 0x33a8, v113
	v_add_f16_e32 v46, v54, v46
	v_fmac_f16_e32 v62, 0x3bf1, v3
	v_add_f16_e32 v118, v125, v118
	v_fma_f16 v61, v8, 0xb5ac, -v86
	v_add_f16_e32 v98, v112, v98
	v_fmamk_f16 v112, v5, 0xb94e, v115
	v_mul_f16_e32 v117, 0x2fb7, v53
	v_add_f16_e32 v48, v48, v118
	v_add_f16_e32 v24, v24, v29
	;; [unrolled: 1-line block ×7, first 2 shown]
	v_fma_f16 v56, v8, 0xb9fd, -v72
	v_fma_f16 v59, v34, 0x2fb7, -v74
	;; [unrolled: 1-line block ×3, first 2 shown]
	v_add_f16_e32 v98, v112, v98
	v_add_f16_e32 v50, v52, v50
	v_fma_f16 v52, v39, 0xb5ac, -v67
	v_add_f16_e32 v56, v56, v0
	v_fmamk_f16 v112, v4, 0xbbf1, v117
	v_mul_f16_e32 v120, 0x3b15, v57
	v_add_f16_e32 v24, v25, v24
	v_add_f16_e32 v50, v52, v50
	v_fma_f16 v52, v40, 0x2fb7, -v70
	v_add_f16_e32 v25, v32, v27
	v_add_f16_e32 v98, v112, v98
	v_fmamk_f16 v112, v3, 0xb770, v120
	v_mul_f16_e32 v45, 0x3b15, v45
	v_add_f16_e32 v50, v52, v50
	v_add_f16_e32 v52, v59, v56
	v_fma_f16 v56, v9, 0x388b, -v77
	v_add_f16_e32 v16, v16, v24
	v_add_f16_e32 v24, v33, v25
	v_fmac_f16_e32 v66, 0xb94e, v19
	v_fma_f16 v64, v8, 0x2fb7, -v100
	v_add_f16_e32 v52, v56, v52
	v_fma_f16 v56, v10, 0xbbc4, -v79
	v_add_f16_e32 v98, v112, v98
	v_fmamk_f16 v112, v19, 0x3770, v45
	v_mul_f16_e32 v47, 0x388b, v47
	v_add_f16_e32 v11, v11, v16
	v_add_f16_e32 v52, v56, v52
	v_fma_f16 v56, v39, 0x3b15, -v81
	v_add_f16_e32 v16, v38, v24
	v_add_f16_sdwa v54, v66, v0 dst_sel:DWORD dst_unused:UNUSED_PAD src0_sel:DWORD src1_sel:WORD_1
	v_add_f16_e32 v64, v64, v0
	v_fma_f16 v66, v34, 0xbbc4, -v102
	v_add_f16_e32 v52, v56, v52
	v_fma_f16 v56, v40, 0xb5ac, -v83
	v_add_f16_sdwa v112, v112, v0 dst_sel:DWORD dst_unused:UNUSED_PAD src0_sel:DWORD src1_sel:WORD_1
	v_fmamk_f16 v124, v23, 0x3a95, v47
	v_mul_f16_e32 v49, 0x2fb7, v49
	v_add_f16_e32 v7, v7, v11
	v_add_f16_e32 v52, v56, v52
	;; [unrolled: 1-line block ×3, first 2 shown]
	v_fma_f16 v61, v9, 0x3b15, -v91
	v_add_f16_e32 v11, v35, v16
	v_fmac_f16_e32 v80, 0xbb7b, v19
	v_fmac_f16_e32 v69, 0x3bf1, v23
	;; [unrolled: 1-line block ×3, first 2 shown]
	v_add_f16_e32 v56, v61, v56
	v_fma_f16 v61, v10, 0x2fb7, -v93
	v_add_f16_e32 v64, v66, v64
	v_fma_f16 v66, v9, 0xb5ac, -v105
	v_fmac_f16_e32 v108, 0xba95, v19
	v_fma_f16 v67, v8, 0x388b, -v114
	v_add_f16_e32 v56, v61, v56
	v_fma_f16 v61, v39, 0xbbc4, -v95
	v_fmac_f16_e32 v45, 0xb770, v19
	v_fma_f16 v8, v8, 0x3b15, -v55
	v_add_f16_e32 v112, v124, v112
	v_fmamk_f16 v124, v14, 0x3bf1, v49
	v_add_f16_e32 v56, v61, v56
	v_fma_f16 v61, v40, 0x388b, -v97
	v_mul_f16_e32 v51, 0xb5ac, v51
	v_add_f16_e32 v6, v6, v7
	v_add_f16_e32 v7, v15, v11
	v_add_f16_sdwa v59, v80, v0 dst_sel:DWORD dst_unused:UNUSED_PAD src0_sel:DWORD src1_sel:WORD_1
	v_fmac_f16_e32 v82, 0x394e, v23
	v_add_f16_e32 v54, v69, v54
	v_add_f16_sdwa v62, v94, v0 dst_sel:DWORD dst_unused:UNUSED_PAD src0_sel:DWORD src1_sel:WORD_1
	v_fmac_f16_e32 v96, 0xb3a8, v23
	v_add_f16_e32 v56, v61, v56
	v_add_f16_e32 v61, v66, v64
	v_add_f16_sdwa v66, v108, v0 dst_sel:DWORD dst_unused:UNUSED_PAD src0_sel:DWORD src1_sel:WORD_1
	v_fmac_f16_e32 v110, 0xbb7b, v23
	v_add_f16_e32 v67, v67, v0
	v_fma_f16 v69, v34, 0xb5ac, -v116
	v_add_f16_sdwa v24, v45, v0 dst_sel:DWORD dst_unused:UNUSED_PAD src0_sel:DWORD src1_sel:WORD_1
	v_fmac_f16_e32 v47, 0xba95, v23
	v_add_f16_e32 v0, v8, v0
	v_fma_f16 v8, v34, 0x388b, -v58
	v_add_f16_e32 v112, v124, v112
	v_fmamk_f16 v124, v5, 0x3b7b, v51
	v_mul_f16_e32 v53, 0xb9fd, v53
	v_add_f16_e32 v6, v17, v6
	v_add_f16_e32 v7, v22, v7
	v_fmac_f16_e32 v71, 0xba95, v14
	v_add_f16_e32 v59, v82, v59
	v_fmac_f16_e32 v85, 0x3770, v14
	;; [unrolled: 2-line block ×4, first 2 shown]
	v_add_f16_e32 v67, v69, v67
	v_fma_f16 v69, v9, 0xbbc4, -v119
	v_add_f16_e32 v11, v47, v24
	v_fmac_f16_e32 v49, 0xbbf1, v14
	v_add_f16_e32 v0, v8, v0
	v_fma_f16 v8, v9, 0x2fb7, -v60
	v_add_f16_e32 v112, v124, v112
	v_fmamk_f16 v124, v4, 0x394e, v53
	v_mul_f16_e32 v57, 0xbbc4, v57
	v_fmac_f16_e32 v73, 0x33a8, v5
	v_fmac_f16_e32 v87, 0xbbf1, v5
	;; [unrolled: 1-line block ×5, first 2 shown]
	v_add_f16_e32 v5, v13, v6
	v_add_f16_e32 v6, v18, v7
	;; [unrolled: 1-line block ×5, first 2 shown]
	v_fma_f16 v64, v10, 0x3b15, -v107
	v_add_f16_e32 v66, v113, v66
	v_add_f16_e32 v30, v69, v67
	v_fma_f16 v29, v10, 0xb9fd, -v121
	v_add_f16_e32 v9, v49, v11
	v_add_f16_e32 v0, v8, v0
	v_fma_f16 v7, v10, 0xb5ac, -v63
	v_add_f16_e32 v112, v124, v112
	v_fmamk_f16 v124, v3, 0x33a8, v57
	v_add_f16_e32 v1, v1, v5
	v_add_f16_e32 v5, v12, v6
	;; [unrolled: 1-line block ×3, first 2 shown]
	v_fmac_f16_e32 v75, 0x3770, v4
	v_add_f16_e32 v59, v87, v59
	v_fmac_f16_e32 v89, 0x33a8, v4
	v_add_f16_e32 v62, v101, v62
	;; [unrolled: 2-line block ×3, first 2 shown]
	v_fma_f16 v64, v39, 0x388b, -v109
	v_add_f16_e32 v28, v115, v66
	v_fmac_f16_e32 v117, 0x3bf1, v4
	v_add_f16_e32 v27, v29, v30
	v_fma_f16 v29, v39, 0x2fb7, -v122
	v_add_f16_e32 v8, v51, v9
	v_fmac_f16_e32 v53, 0xb94e, v4
	v_add_f16_e32 v0, v7, v0
	v_fma_f16 v4, v39, 0xb9fd, -v65
	v_add_f16_e32 v112, v124, v112
	v_add_f16_sdwa v1, v26, v1 dst_sel:WORD_1 dst_unused:UNUSED_PAD src0_sel:DWORD src1_sel:DWORD
	v_add_f16_e32 v5, v21, v5
	v_add_f16_e32 v54, v75, v54
	v_fmac_f16_e32 v78, 0xbb7b, v3
	v_add_f16_e32 v59, v89, v59
	v_fmac_f16_e32 v92, 0x3a95, v3
	;; [unrolled: 2-line block ×3, first 2 shown]
	v_add_f16_e32 v61, v64, v61
	v_fma_f16 v64, v40, 0xb9fd, -v111
	v_add_f16_e32 v28, v117, v28
	v_fmac_f16_e32 v120, 0x3770, v3
	v_add_f16_e32 v27, v29, v27
	v_fma_f16 v19, v40, 0x3b15, -v123
	v_add_f16_e32 v6, v53, v8
	v_fmac_f16_e32 v57, 0xb3a8, v3
	v_add_f16_e32 v0, v4, v0
	v_fma_f16 v3, v40, 0xbbc4, -v68
	v_or_b32_sdwa v1, v1, v5 dst_sel:DWORD dst_unused:UNUSED_PAD src0_sel:DWORD src1_sel:WORD_0
	v_pack_b32_f16 v4, v48, v112
	v_pack_b32_f16 v5, v104, v98
	;; [unrolled: 1-line block ×3, first 2 shown]
	v_add_nc_u32_e32 v8, 0x400, v36
	v_add_f16_e32 v54, v78, v54
	v_add_f16_e32 v59, v92, v59
	;; [unrolled: 1-line block ×8, first 2 shown]
	ds_write2_b32 v36, v1, v4 offset1:143
	ds_write2_b32 v8, v5, v7 offset0:30 offset1:173
	v_pack_b32_f16 v1, v76, v44
	v_pack_b32_f16 v3, v43, v42
	v_add_nc_u32_e32 v4, 0x800, v36
	v_pack_b32_f16 v2, v41, v2
	v_pack_b32_f16 v5, v50, v46
	v_add_nc_u32_e32 v7, 0xc00, v36
	;; [unrolled: 3-line block ×4, first 2 shown]
	v_pack_b32_f16 v0, v0, v6
	ds_write2_b32 v4, v1, v3 offset0:60 offset1:203
	ds_write2_b32 v7, v2, v5 offset0:90 offset1:233
	;; [unrolled: 1-line block ×4, first 2 shown]
	ds_write_b32 v36, v0 offset:6864
.LBB0_21:
	s_or_b32 exec_lo, exec_lo, s0
	s_waitcnt lgkmcnt(0)
	s_barrier
	buffer_gl0_inv
	s_and_b32 exec_lo, exec_lo, vcc_lo
	s_cbranch_execz .LBB0_23
; %bb.22:
	s_clause 0x3
	global_load_dword v14, v36, s[14:15]
	global_load_dword v15, v36, s[14:15] offset:572
	global_load_dword v16, v36, s[14:15] offset:1144
	;; [unrolled: 1-line block ×3, first 2 shown]
	v_add_co_u32 v0, s0, s14, v36
	v_add_co_ci_u32_e64 v1, null, s15, 0, s0
	v_add_nc_u32_e32 v2, 0x200, v36
	v_add_co_u32 v4, vcc_lo, 0x800, v0
	v_add_co_ci_u32_e32 v5, vcc_lo, 0, v1, vcc_lo
	v_add_nc_u32_e32 v3, 0x600, v36
	v_add_nc_u32_e32 v18, 0xa00, v36
	s_clause 0x1
	global_load_dword v19, v[4:5], off offset:240
	global_load_dword v21, v[4:5], off offset:812
	ds_read_b32 v22, v36
	ds_read2_b32 v[8:9], v2 offset0:15 offset1:158
	ds_read2_b32 v[6:7], v3 offset0:45 offset1:188
	;; [unrolled: 1-line block ×3, first 2 shown]
	v_mad_u64_u32 v[12:13], null, s6, v20, 0
	v_mad_u64_u32 v[10:11], null, s4, v37, 0
	v_add_co_u32 v24, vcc_lo, 0x1000, v0
	v_add_co_ci_u32_e32 v25, vcc_lo, 0, v1, vcc_lo
	v_add_co_u32 v0, vcc_lo, 0x1800, v0
	v_add_co_ci_u32_e32 v1, vcc_lo, 0, v1, vcc_lo
	s_mov_b32 s16, 0x2ab08acf
	s_mov_b32 s17, 0x3f41a06e
	s_mul_i32 s0, s5, 0x23c
	s_mul_hi_u32 s18, s4, 0x23c
	s_mul_i32 s19, s4, 0x23c
	s_add_i32 s18, s18, s0
	s_waitcnt lgkmcnt(0)
	v_lshrrev_b32_e32 v39, 16, v2
	s_waitcnt vmcnt(5)
	v_mad_u64_u32 v[26:27], null, s7, v20, v[13:14]
	s_clause 0x5
	global_load_dword v43, v[4:5], off offset:1384
	global_load_dword v23, v[4:5], off offset:1956
	;; [unrolled: 1-line block ×6, first 2 shown]
	v_lshrrev_b32_e32 v24, 16, v22
	v_mad_u64_u32 v[27:28], null, s5, v37, v[11:12]
	v_lshrrev_b32_e32 v25, 16, v8
	v_mul_f16_sdwa v30, v22, v14 dst_sel:DWORD dst_unused:UNUSED_PAD src0_sel:DWORD src1_sel:WORD_1
	v_mov_b32_e32 v13, v26
	v_lshrrev_b32_e32 v26, 16, v9
	v_mul_f16_sdwa v29, v24, v14 dst_sel:DWORD dst_unused:UNUSED_PAD src0_sel:DWORD src1_sel:WORD_1
	s_waitcnt vmcnt(10)
	v_mul_f16_sdwa v31, v25, v15 dst_sel:DWORD dst_unused:UNUSED_PAD src0_sel:DWORD src1_sel:WORD_1
	v_mov_b32_e32 v11, v27
	v_lshrrev_b32_e32 v27, 16, v6
	v_mul_f16_sdwa v32, v8, v15 dst_sel:DWORD dst_unused:UNUSED_PAD src0_sel:DWORD src1_sel:WORD_1
	s_waitcnt vmcnt(9)
	v_mul_f16_sdwa v33, v26, v16 dst_sel:DWORD dst_unused:UNUSED_PAD src0_sel:DWORD src1_sel:WORD_1
	v_mul_f16_sdwa v34, v9, v16 dst_sel:DWORD dst_unused:UNUSED_PAD src0_sel:DWORD src1_sel:WORD_1
	v_fmac_f16_e32 v29, v22, v14
	s_waitcnt vmcnt(8)
	v_mul_f16_sdwa v35, v27, v17 dst_sel:DWORD dst_unused:UNUSED_PAD src0_sel:DWORD src1_sel:WORD_1
	v_mul_f16_sdwa v37, v6, v17 dst_sel:DWORD dst_unused:UNUSED_PAD src0_sel:DWORD src1_sel:WORD_1
	v_fma_f16 v14, v14, v24, -v30
	v_fmac_f16_e32 v31, v8, v15
	v_fma_f16 v8, v15, v25, -v32
	v_fmac_f16_e32 v33, v9, v16
	v_fma_f16 v9, v16, v26, -v34
	v_cvt_f32_f16_e32 v15, v29
	v_fmac_f16_e32 v35, v6, v17
	v_fma_f16 v6, v17, v27, -v37
	v_cvt_f32_f16_e32 v14, v14
	v_cvt_f32_f16_e32 v22, v8
	;; [unrolled: 1-line block ×3, first 2 shown]
	v_cvt_f64_f32_e32 v[8:9], v15
	v_cvt_f32_f16_e32 v16, v31
	v_cvt_f64_f32_e32 v[14:15], v14
	v_lshrrev_b32_e32 v28, 16, v7
	v_cvt_f32_f16_e32 v26, v33
	v_cvt_f32_f16_e32 v30, v6
	v_cvt_f64_f32_e32 v[16:17], v16
	s_waitcnt vmcnt(7)
	v_mul_f16_sdwa v6, v7, v19 dst_sel:DWORD dst_unused:UNUSED_PAD src0_sel:DWORD src1_sel:WORD_1
	v_mul_f16_sdwa v31, v28, v19 dst_sel:DWORD dst_unused:UNUSED_PAD src0_sel:DWORD src1_sel:WORD_1
	v_cvt_f64_f32_e32 v[24:25], v22
	v_lshlrev_b64 v[12:13], 2, v[12:13]
	s_waitcnt vmcnt(6)
	v_mul_f16_sdwa v32, v39, v21 dst_sel:DWORD dst_unused:UNUSED_PAD src0_sel:DWORD src1_sel:WORD_1
	v_lshlrev_b64 v[10:11], 2, v[10:11]
	v_fmac_f16_e32 v31, v7, v19
	v_fma_f16 v19, v19, v28, -v6
	v_cvt_f64_f32_e32 v[6:7], v26
	v_cvt_f32_f16_e32 v29, v35
	v_cvt_f64_f32_e32 v[26:27], v27
	v_add_co_u32 v12, vcc_lo, s12, v12
	v_add_co_ci_u32_e32 v13, vcc_lo, s13, v13, vcc_lo
	v_mul_f64 v[8:9], v[8:9], s[16:17]
	v_mul_f16_sdwa v40, v2, v21 dst_sel:DWORD dst_unused:UNUSED_PAD src0_sel:DWORD src1_sel:WORD_1
	v_mul_f64 v[14:15], v[14:15], s[16:17]
	v_fmac_f16_e32 v32, v2, v21
	v_cvt_f32_f16_e32 v2, v31
	v_cvt_f64_f32_e32 v[28:29], v29
	v_add_co_u32 v10, vcc_lo, v12, v10
	v_mul_f64 v[16:17], v[16:17], s[16:17]
	v_add_co_ci_u32_e32 v11, vcc_lo, v13, v11, vcc_lo
	v_cvt_f32_f16_e32 v22, v32
	v_cvt_f64_f32_e32 v[32:33], v2
	v_fma_f16 v2, v21, v39, -v40
	v_cvt_f64_f32_e32 v[30:31], v30
	v_add_co_u32 v12, vcc_lo, v10, s19
	v_mul_f64 v[24:25], v[24:25], s[16:17]
	v_add_co_ci_u32_e32 v13, vcc_lo, s18, v11, vcc_lo
	v_cvt_f32_f16_e32 v2, v2
	v_add_co_u32 v21, vcc_lo, v12, s19
	v_mul_f64 v[6:7], v[6:7], s[16:17]
	v_cvt_f64_f32_e32 v[37:38], v22
	v_add_co_ci_u32_e32 v22, vcc_lo, s18, v13, vcc_lo
	v_cvt_f64_f32_e32 v[41:42], v2
	v_and_or_b32 v2, 0x1ff, v9, v8
	v_add_co_u32 v39, vcc_lo, v21, s19
	v_mul_f64 v[26:27], v[26:27], s[16:17]
	v_add_co_ci_u32_e32 v40, vcc_lo, s18, v22, vcc_lo
	v_and_or_b32 v14, 0x1ff, v15, v14
	v_cmp_ne_u32_e32 vcc_lo, 0, v2
	v_mul_f64 v[28:29], v[28:29], s[16:17]
	v_and_or_b32 v16, 0x1ff, v17, v16
	v_mul_f64 v[30:31], v[30:31], s[16:17]
	v_and_or_b32 v24, 0x1ff, v25, v24
	v_cndmask_b32_e64 v2, 0, 1, vcc_lo
	v_cmp_ne_u32_e32 vcc_lo, 0, v14
	v_cvt_f32_f16_e32 v19, v19
	v_lshrrev_b32_e32 v8, 8, v9
	v_lshrrev_b32_e32 v44, 8, v15
	v_and_or_b32 v6, 0x1ff, v7, v6
	v_cndmask_b32_e64 v14, 0, 1, vcc_lo
	v_cmp_ne_u32_e32 vcc_lo, 0, v16
	v_cvt_f64_f32_e32 v[34:35], v19
	v_bfe_u32 v19, v9, 20, 11
	v_bfe_u32 v51, v7, 20, 11
	v_and_or_b32 v2, 0xffe, v8, v2
	v_cndmask_b32_e64 v16, 0, 1, vcc_lo
	v_cmp_ne_u32_e32 vcc_lo, 0, v24
	v_and_or_b32 v26, 0x1ff, v27, v26
	v_bfe_u32 v53, v27, 20, 11
	v_bfe_u32 v45, v15, 20, 11
	v_lshrrev_b32_e32 v46, 8, v17
	v_cndmask_b32_e64 v24, 0, 1, vcc_lo
	v_cmp_ne_u32_e32 vcc_lo, 0, v6
	v_and_or_b32 v28, 0x1ff, v29, v28
	v_and_or_b32 v30, 0x1ff, v31, v30
	v_lshrrev_b32_e32 v50, 8, v7
	v_lshrrev_b32_e32 v52, 8, v27
	v_cndmask_b32_e64 v6, 0, 1, vcc_lo
	v_cmp_ne_u32_e32 vcc_lo, 0, v26
	v_bfe_u32 v55, v29, 20, 11
	v_bfe_u32 v57, v31, 20, 11
	v_sub_nc_u32_e32 v58, 0x3f1, v19
	v_add_nc_u32_e32 v19, 0xfffffc10, v19
	v_cndmask_b32_e64 v26, 0, 1, vcc_lo
	v_cmp_ne_u32_e32 vcc_lo, 0, v28
	v_sub_nc_u32_e32 v62, 0x3f1, v51
	v_sub_nc_u32_e32 v63, 0x3f1, v53
	v_and_or_b32 v14, 0xffe, v44, v14
	v_bfe_u32 v47, v17, 20, 11
	v_cndmask_b32_e64 v28, 0, 1, vcc_lo
	v_cmp_ne_u32_e32 vcc_lo, 0, v30
	v_lshrrev_b32_e32 v48, 8, v25
	v_lshrrev_b32_e32 v54, 8, v29
	;; [unrolled: 1-line block ×3, first 2 shown]
	v_sub_nc_u32_e32 v59, 0x3f1, v45
	v_cndmask_b32_e64 v30, 0, 1, vcc_lo
	v_cmp_ne_u32_e32 vcc_lo, 0, v2
	v_add_nc_u32_e32 v45, 0xfffffc10, v45
	v_sub_nc_u32_e32 v64, 0x3f1, v55
	v_sub_nc_u32_e32 v65, 0x3f1, v57
	v_and_or_b32 v16, 0xffe, v46, v16
	v_and_or_b32 v6, 0xffe, v50, v6
	v_med3_i32 v50, v62, 0, 13
	v_and_or_b32 v26, 0xffe, v52, v26
	v_med3_i32 v52, v63, 0, 13
	v_or_b32_e32 v62, 0x1000, v2
	v_lshl_or_b32 v63, v19, 12, v2
	v_cndmask_b32_e64 v2, 0, 1, vcc_lo
	v_cmp_ne_u32_e32 vcc_lo, 0, v14
	v_bfe_u32 v49, v25, 20, 11
	v_sub_nc_u32_e32 v60, 0x3f1, v47
	v_add_nc_u32_e32 v47, 0xfffffc10, v47
	v_and_or_b32 v24, 0xffe, v48, v24
	v_and_or_b32 v28, 0xffe, v54, v28
	v_med3_i32 v54, v64, 0, 13
	v_and_or_b32 v30, 0xffe, v56, v30
	v_med3_i32 v56, v65, 0, 13
	v_or_b32_e32 v64, 0x1000, v14
	v_lshl_or_b32 v65, v45, 12, v14
	v_cndmask_b32_e64 v14, 0, 1, vcc_lo
	v_cmp_ne_u32_e32 vcc_lo, 0, v16
	v_mul_f64 v[32:33], v[32:33], s[16:17]
	v_sub_nc_u32_e32 v61, 0x3f1, v49
	v_add_nc_u32_e32 v49, 0xfffffc10, v49
	v_or_b32_e32 v66, 0x1000, v16
	v_lshl_or_b32 v67, v47, 12, v16
	v_cndmask_b32_e64 v16, 0, 1, vcc_lo
	v_cmp_ne_u32_e32 vcc_lo, 0, v24
	v_add_nc_u32_e32 v51, 0xfffffc10, v51
	v_or_b32_e32 v68, 0x1000, v24
	v_lshl_or_b32 v69, v49, 12, v24
	v_mul_f64 v[34:35], v[34:35], s[16:17]
	v_cndmask_b32_e64 v24, 0, 1, vcc_lo
	v_cmp_ne_u32_e32 vcc_lo, 0, v6
	v_add_nc_u32_e32 v53, 0xfffffc10, v53
	v_or_b32_e32 v70, 0x1000, v6
	v_lshl_or_b32 v71, v51, 12, v6
	v_add_nc_u32_e32 v55, 0xfffffc10, v55
	v_cndmask_b32_e64 v6, 0, 1, vcc_lo
	v_cmp_ne_u32_e32 vcc_lo, 0, v26
	v_or_b32_e32 v72, 0x1000, v26
	v_lshl_or_b32 v73, v53, 12, v26
	v_add_nc_u32_e32 v57, 0xfffffc10, v57
	v_and_or_b32 v32, 0x1ff, v33, v32
	v_cndmask_b32_e64 v26, 0, 1, vcc_lo
	v_cmp_ne_u32_e32 vcc_lo, 0, v28
	v_or_b32_e32 v74, 0x1000, v28
	v_lshl_or_b32 v75, v55, 12, v28
	v_or_b32_e32 v76, 0x1000, v30
	v_lshl_or_b32 v77, v57, 12, v30
	v_cndmask_b32_e64 v28, 0, 1, vcc_lo
	v_cmp_ne_u32_e32 vcc_lo, 0, v30
	v_med3_i32 v8, v58, 0, 13
	v_lshrrev_b32_e32 v58, 8, v33
	v_and_or_b32 v34, 0x1ff, v35, v34
	v_med3_i32 v44, v59, 0, 13
	v_cndmask_b32_e64 v30, 0, 1, vcc_lo
	v_cmp_ne_u32_e32 vcc_lo, 0, v32
	v_med3_i32 v48, v61, 0, 13
	v_bfe_u32 v59, v33, 20, 11
	v_bfe_u32 v61, v35, 20, 11
	v_lshrrev_b32_e32 v80, v8, v62
	v_cndmask_b32_e64 v32, 0, 1, vcc_lo
	v_cmp_ne_u32_e32 vcc_lo, 0, v34
	v_med3_i32 v46, v60, 0, 13
	v_lshrrev_b32_e32 v60, 8, v35
	v_sub_nc_u32_e32 v78, 0x3f1, v59
	v_and_or_b32 v32, 0xffe, v58, v32
	v_add_nc_u32_e32 v59, 0xfffffc10, v59
	v_cndmask_b32_e64 v34, 0, 1, vcc_lo
	v_sub_nc_u32_e32 v79, 0x3f1, v61
	v_lshrrev_b32_e32 v81, v44, v64
	v_lshlrev_b32_e32 v8, v8, v80
	v_cmp_ne_u32_e32 vcc_lo, 0, v32
	v_lshrrev_b32_e32 v82, v46, v66
	v_med3_i32 v58, v78, 0, 13
	v_and_or_b32 v34, 0xffe, v60, v34
	v_med3_i32 v60, v79, 0, 13
	v_lshlrev_b32_e32 v44, v44, v81
	v_or_b32_e32 v78, 0x1000, v32
	v_lshl_or_b32 v79, v59, 12, v32
	v_cndmask_b32_e64 v32, 0, 1, vcc_lo
	v_cmp_ne_u32_e32 vcc_lo, v8, v62
	v_lshrrev_b32_e32 v83, v48, v68
	v_lshlrev_b32_e32 v46, v46, v82
	v_lshrrev_b32_e32 v84, v50, v70
	v_lshrrev_b32_e32 v85, v52, v72
	v_cndmask_b32_e64 v8, 0, 1, vcc_lo
	v_cmp_ne_u32_e32 vcc_lo, v44, v64
	v_lshlrev_b32_e32 v48, v48, v83
	v_lshlrev_b32_e32 v50, v50, v84
	v_lshrrev_b32_e32 v86, v54, v74
	v_lshlrev_b32_e32 v52, v52, v85
	v_cndmask_b32_e64 v44, 0, 1, vcc_lo
	v_cmp_ne_u32_e32 vcc_lo, v46, v66
	v_lshrrev_b32_e32 v87, v56, v76
	v_lshlrev_b32_e32 v54, v54, v86
	v_or_b32_e32 v8, v80, v8
	v_or_b32_e32 v44, v81, v44
	v_cndmask_b32_e64 v46, 0, 1, vcc_lo
	v_cmp_ne_u32_e32 vcc_lo, v48, v68
	v_lshlrev_b32_e32 v56, v56, v87
	v_or_b32_e32 v88, 0x1000, v34
	v_lshrrev_b32_e32 v62, v58, v78
	v_or_b32_e32 v46, v82, v46
	v_cndmask_b32_e64 v48, 0, 1, vcc_lo
	v_cmp_ne_u32_e32 vcc_lo, v50, v70
	v_lshrrev_b32_e32 v64, v60, v88
	v_lshlrev_b32_e32 v58, v58, v62
	v_lshl_or_b32 v2, v2, 9, 0x7c00
	v_or_b32_e32 v48, v83, v48
	v_cndmask_b32_e64 v50, 0, 1, vcc_lo
	v_cmp_ne_u32_e32 vcc_lo, v52, v72
	v_lshlrev_b32_e32 v60, v60, v64
	v_lshl_or_b32 v14, v14, 9, 0x7c00
	v_lshl_or_b32 v16, v16, 9, 0x7c00
	v_or_b32_e32 v50, v84, v50
	v_cndmask_b32_e64 v52, 0, 1, vcc_lo
	v_cmp_ne_u32_e32 vcc_lo, v54, v74
	v_cmp_gt_i32_e64 s15, 1, v59
	v_lshl_or_b32 v24, v24, 9, 0x7c00
	v_mul_f64 v[37:38], v[37:38], s[16:17]
	v_or_b32_e32 v52, v85, v52
	v_cndmask_b32_e64 v54, 0, 1, vcc_lo
	v_cmp_ne_u32_e32 vcc_lo, v56, v76
	v_lshrrev_b32_e32 v9, 16, v9
	v_lshrrev_b32_e32 v17, 16, v17
	v_lshl_or_b32 v6, v6, 9, 0x7c00
	v_or_b32_e32 v54, v86, v54
	v_cndmask_b32_e64 v56, 0, 1, vcc_lo
	v_cmp_gt_i32_e32 vcc_lo, 1, v19
	v_lshrrev_b32_e32 v15, 16, v15
	v_lshrrev_b32_e32 v25, 16, v25
	;; [unrolled: 1-line block ×3, first 2 shown]
	v_or_b32_e32 v56, v87, v56
	v_cndmask_b32_e32 v8, v63, v8, vcc_lo
	v_cmp_gt_i32_e32 vcc_lo, 1, v45
	v_lshl_or_b32 v26, v26, 9, 0x7c00
	v_lshrrev_b32_e32 v27, 16, v27
	v_add_nc_u32_e32 v61, 0xfffffc10, v61
	v_and_b32_e32 v63, 7, v8
	v_cndmask_b32_e32 v44, v65, v44, vcc_lo
	v_cmp_gt_i32_e32 vcc_lo, 1, v47
	v_lshrrev_b32_e32 v8, 2, v8
	v_lshl_or_b32 v89, v61, 12, v34
	v_cmp_eq_u32_e64 s0, 3, v63
	v_and_b32_e32 v65, 7, v44
	v_cndmask_b32_e32 v46, v67, v46, vcc_lo
	v_cmp_gt_i32_e32 vcc_lo, 1, v49
	v_lshrrev_b32_e32 v44, 2, v44
	v_lshl_or_b32 v28, v28, 9, 0x7c00
	v_cmp_lt_i32_e64 s1, 5, v65
	v_and_b32_e32 v66, 7, v46
	v_cndmask_b32_e32 v48, v69, v48, vcc_lo
	v_cmp_gt_i32_e32 vcc_lo, 1, v51
	v_cmp_eq_u32_e64 s2, 3, v65
	v_lshrrev_b32_e32 v46, 2, v46
	v_cmp_lt_i32_e64 s3, 5, v66
	v_and_b32_e32 v67, 7, v48
	v_cndmask_b32_e32 v50, v71, v50, vcc_lo
	v_cmp_gt_i32_e32 vcc_lo, 1, v53
	v_cmp_eq_u32_e64 s4, 3, v66
	v_lshrrev_b32_e32 v48, 2, v48
	;; [unrolled: 6-line block ×4, first 2 shown]
	v_cmp_lt_i32_e64 s9, 5, v69
	v_and_b32_e32 v70, 7, v54
	v_cndmask_b32_e32 v56, v77, v56, vcc_lo
	v_cmp_ne_u32_e32 vcc_lo, v58, v78
	v_cmp_eq_u32_e64 s10, 3, v69
	v_lshrrev_b32_e32 v54, 2, v54
	v_cmp_lt_i32_e64 s11, 5, v70
	v_and_b32_e32 v71, 7, v56
	v_cndmask_b32_e64 v58, 0, 1, vcc_lo
	v_cmp_ne_u32_e32 vcc_lo, v60, v88
	v_cmp_eq_u32_e64 s12, 3, v70
	v_lshrrev_b32_e32 v56, 2, v56
	v_cmp_lt_i32_e64 s13, 5, v71
	v_cmp_eq_u32_e64 s14, 3, v71
	v_cndmask_b32_e64 v60, 0, 1, vcc_lo
	v_cmp_lt_i32_e32 vcc_lo, 5, v63
	v_or_b32_e32 v58, v62, v58
	v_lshrrev_b32_e32 v29, 16, v29
	v_lshl_or_b32 v30, v30, 9, 0x7c00
	v_or_b32_e32 v60, v64, v60
	s_or_b32 vcc_lo, s0, vcc_lo
	v_cndmask_b32_e64 v58, v79, v58, s15
	v_add_co_ci_u32_e32 v8, vcc_lo, 0, v8, vcc_lo
	s_or_b32 vcc_lo, s2, s1
	v_cmp_eq_u32_e64 s1, 0x40f, v19
	v_add_co_ci_u32_e32 v44, vcc_lo, 0, v44, vcc_lo
	s_or_b32 vcc_lo, s4, s3
	v_and_b32_e32 v62, 7, v58
	v_add_co_ci_u32_e32 v46, vcc_lo, 0, v46, vcc_lo
	s_or_b32 vcc_lo, s6, s5
	v_lshrrev_b32_e32 v58, 2, v58
	v_add_co_ci_u32_e32 v48, vcc_lo, 0, v48, vcc_lo
	s_or_b32 vcc_lo, s8, s7
	v_cmp_eq_u32_e64 s0, 3, v62
	v_add_co_ci_u32_e32 v50, vcc_lo, 0, v50, vcc_lo
	s_or_b32 vcc_lo, s10, s9
	v_lshrrev_b32_e32 v31, 16, v31
	v_add_co_ci_u32_e32 v52, vcc_lo, 0, v52, vcc_lo
	s_or_b32 vcc_lo, s12, s11
	v_add_co_ci_u32_e32 v54, vcc_lo, 0, v54, vcc_lo
	s_or_b32 vcc_lo, s14, s13
	v_add_co_ci_u32_e32 v56, vcc_lo, 0, v56, vcc_lo
	v_cmp_gt_i32_e32 vcc_lo, 31, v19
	v_cndmask_b32_e32 v8, 0x7c00, v8, vcc_lo
	v_cmp_gt_i32_e32 vcc_lo, 31, v45
	v_cndmask_b32_e64 v2, v8, v2, s1
	v_cndmask_b32_e32 v44, 0x7c00, v44, vcc_lo
	v_cmp_gt_i32_e32 vcc_lo, 31, v47
	v_cmp_eq_u32_e64 s1, 0x40f, v45
	v_and_or_b32 v2, 0x8000, v9, v2
	v_cndmask_b32_e32 v46, 0x7c00, v46, vcc_lo
	v_cmp_gt_i32_e32 vcc_lo, 31, v49
	v_cndmask_b32_e64 v8, v44, v14, s1
	v_cmp_eq_u32_e64 s1, 0x40f, v47
	v_and_b32_e32 v2, 0xffff, v2
	v_cndmask_b32_e32 v48, 0x7c00, v48, vcc_lo
	v_cmp_gt_i32_e32 vcc_lo, 31, v51
	v_cndmask_b32_e64 v14, v46, v16, s1
	v_cmp_eq_u32_e64 s1, 0x40f, v49
	v_and_or_b32 v8, 0x8000, v15, v8
	v_cndmask_b32_e32 v50, 0x7c00, v50, vcc_lo
	v_cmp_gt_i32_e32 vcc_lo, 31, v53
	v_cndmask_b32_e64 v16, v48, v24, s1
	v_cmp_eq_u32_e64 s1, 0x40f, v51
	v_and_or_b32 v9, 0x8000, v17, v14
	v_lshl_or_b32 v2, v8, 16, v2
	v_cndmask_b32_e32 v52, 0x7c00, v52, vcc_lo
	v_cmp_gt_i32_e32 vcc_lo, 31, v55
	v_cndmask_b32_e64 v6, v50, v6, s1
	v_cmp_eq_u32_e64 s1, 0x40f, v53
	v_and_or_b32 v14, 0x8000, v25, v16
	v_and_b32_e32 v9, 0xffff, v9
	v_cndmask_b32_e32 v54, 0x7c00, v54, vcc_lo
	v_cmp_gt_i32_e32 vcc_lo, 31, v57
	v_cndmask_b32_e64 v19, v52, v26, s1
	v_and_or_b32 v6, 0x8000, v7, v6
	v_lshl_or_b32 v8, v14, 16, v9
	v_cmp_eq_u32_e64 s1, 0x40f, v55
	v_cndmask_b32_e32 v56, 0x7c00, v56, vcc_lo
	v_cmp_lt_i32_e32 vcc_lo, 5, v62
	v_and_or_b32 v7, 0x8000, v27, v19
	v_and_b32_e32 v6, 0xffff, v6
	global_store_dword v[10:11], v2, off
	global_store_dword v[12:13], v8, off
	v_cndmask_b32_e64 v24, v54, v28, s1
	s_or_b32 vcc_lo, s0, vcc_lo
	v_cmp_eq_u32_e64 s1, 0x40f, v57
	v_add_co_ci_u32_e32 v9, vcc_lo, 0, v58, vcc_lo
	v_cmp_gt_i32_e32 vcc_lo, 1, v61
	v_lshl_or_b32 v14, v7, 16, v6
	v_and_or_b32 v6, 0x1ff, v38, v37
	v_cndmask_b32_e64 v26, v56, v30, s1
	v_and_or_b32 v15, 0x8000, v29, v24
	v_cndmask_b32_e32 v2, v89, v60, vcc_lo
	v_cmp_gt_i32_e32 vcc_lo, 31, v59
	v_lshl_or_b32 v8, v32, 9, 0x7c00
	v_and_or_b32 v16, 0x8000, v31, v26
	v_and_b32_e32 v15, 0xffff, v15
	v_lshrrev_b32_e32 v10, 8, v38
	v_cndmask_b32_e32 v7, 0x7c00, v9, vcc_lo
	v_cmp_ne_u32_e32 vcc_lo, 0, v6
	v_and_b32_e32 v9, 7, v2
	v_bfe_u32 v11, v38, 20, 11
	v_lshl_or_b32 v15, v16, 16, v15
	v_lshrrev_b32_e32 v2, 2, v2
	v_cndmask_b32_e64 v6, 0, 1, vcc_lo
	v_cmp_eq_u32_e32 vcc_lo, 0x40f, v59
	v_cmp_eq_u32_e64 s0, 3, v9
	v_lshrrev_b32_e32 v17, 16, v3
	global_store_dword v[21:22], v14, off
	global_store_dword v[39:40], v15, off
	v_and_or_b32 v16, 0xffe, v10, v6
	v_cndmask_b32_e32 v8, v7, v8, vcc_lo
	v_cmp_lt_i32_e32 vcc_lo, 5, v9
	v_mul_f64 v[6:7], v[41:42], s[16:17]
	v_sub_nc_u32_e32 v9, 0x3f1, v11
	v_or_b32_e32 v12, 0x1000, v16
	v_lshrrev_b32_e32 v10, 16, v33
	s_or_b32 vcc_lo, s0, vcc_lo
	s_waitcnt vmcnt(5)
	v_mul_f16_sdwa v24, v17, v43 dst_sel:DWORD dst_unused:UNUSED_PAD src0_sel:DWORD src1_sel:WORD_1
	v_add_co_ci_u32_e32 v2, vcc_lo, 0, v2, vcc_lo
	v_med3_i32 v9, v9, 0, 13
	v_cmp_ne_u32_e32 vcc_lo, 0, v34
	v_and_or_b32 v10, 0x8000, v10, v8
	v_fmac_f16_e32 v24, v3, v43
	v_mul_f16_sdwa v22, v3, v43 dst_sel:DWORD dst_unused:UNUSED_PAD src0_sel:DWORD src1_sel:WORD_1
	v_lshrrev_b32_e32 v19, v9, v12
	v_cndmask_b32_e64 v13, 0, 1, vcc_lo
	v_cmp_gt_i32_e32 vcc_lo, 31, v61
	v_and_b32_e32 v10, 0xffff, v10
	v_lshlrev_b32_e32 v8, v9, v19
	v_lshl_or_b32 v13, v13, 9, 0x7c00
	v_cndmask_b32_e32 v2, 0x7c00, v2, vcc_lo
	v_cmp_eq_u32_e32 vcc_lo, 0x40f, v61
	v_and_or_b32 v6, 0x1ff, v7, v6
	v_bfe_u32 v25, v7, 20, 11
	v_cndmask_b32_e32 v2, v2, v13, vcc_lo
	v_cmp_ne_u32_e32 vcc_lo, v8, v12
	v_cvt_f32_f16_e32 v8, v24
	v_lshrrev_b32_e32 v13, 16, v35
	v_add_nc_u32_e32 v24, 0xfffffc10, v11
	v_lshrrev_b32_e32 v11, 8, v7
	v_cndmask_b32_e64 v12, 0, 1, vcc_lo
	v_cmp_ne_u32_e32 vcc_lo, 0, v6
	v_cvt_f64_f32_e32 v[8:9], v8
	v_and_or_b32 v2, 0x8000, v13, v2
	v_lshl_or_b32 v13, v24, 12, v16
	v_or_b32_e32 v12, v19, v12
	v_cndmask_b32_e64 v6, 0, 1, vcc_lo
	v_cmp_gt_i32_e32 vcc_lo, 1, v24
	v_lshl_or_b32 v14, v2, 16, v10
	v_and_or_b32 v6, 0xffe, v11, v6
	v_sub_nc_u32_e32 v11, 0x3f1, v25
	v_cndmask_b32_e32 v12, v13, v12, vcc_lo
	v_add_co_u32 v10, vcc_lo, v39, s19
	v_or_b32_e32 v13, 0x1000, v6
	v_med3_i32 v19, v11, 0, 13
	v_and_b32_e32 v15, 7, v12
	v_add_co_ci_u32_e32 v11, vcc_lo, s18, v40, vcc_lo
	v_lshrrev_b32_e32 v12, 2, v12
	v_lshrrev_b32_e32 v21, v19, v13
	v_cmp_lt_i32_e32 vcc_lo, 5, v15
	v_mul_f64 v[2:3], v[8:9], s[16:17]
	v_cmp_eq_u32_e64 s0, 3, v15
	v_fma_f16 v9, v43, v17, -v22
	v_lshlrev_b32_e32 v8, v19, v21
	v_add_nc_u32_e32 v15, 0xfffffc10, v25
	global_store_dword v[10:11], v14, off
	s_or_b32 vcc_lo, s0, vcc_lo
	v_cvt_f32_f16_e32 v9, v9
	v_cmp_ne_u32_e64 s1, v8, v13
	v_add_co_ci_u32_e32 v17, vcc_lo, 0, v12, vcc_lo
	v_cmp_ne_u32_e32 vcc_lo, 0, v16
	v_add_nc_u32_e32 v13, 0xe00, v36
	v_cndmask_b32_e64 v8, 0, 1, s1
	v_cndmask_b32_e64 v16, 0, 1, vcc_lo
	v_cmp_gt_i32_e32 vcc_lo, 1, v15
	v_or_b32_e32 v19, v21, v8
	v_cvt_f64_f32_e32 v[8:9], v9
	v_lshl_or_b32 v21, v15, 12, v6
	ds_read2_b32 v[12:13], v13 offset0:105 offset1:248
	v_and_or_b32 v2, 0x1ff, v3, v2
	v_lshl_or_b32 v16, v16, 9, 0x7c00
	v_lshrrev_b32_e32 v22, 8, v3
	v_cndmask_b32_e32 v19, v21, v19, vcc_lo
	v_cmp_gt_i32_e32 vcc_lo, 31, v24
	v_bfe_u32 v25, v3, 20, 11
	v_and_b32_e32 v21, 7, v19
	v_cndmask_b32_e32 v17, 0x7c00, v17, vcc_lo
	v_cmp_ne_u32_e32 vcc_lo, 0, v2
	v_lshrrev_b32_e32 v19, 2, v19
	v_cmp_eq_u32_e64 s0, 3, v21
	v_cndmask_b32_e64 v2, 0, 1, vcc_lo
	v_cmp_eq_u32_e32 vcc_lo, 0x40f, v24
	v_mul_f64 v[8:9], v[8:9], s[16:17]
	v_and_or_b32 v2, 0xffe, v22, v2
	v_cndmask_b32_e32 v16, v17, v16, vcc_lo
	v_cmp_lt_i32_e32 vcc_lo, 5, v21
	v_sub_nc_u32_e32 v22, 0x3f1, v25
	s_waitcnt lgkmcnt(0)
	v_lshrrev_b32_e32 v24, 16, v12
	v_or_b32_e32 v21, 0x1000, v2
	v_lshrrev_b32_e32 v17, 16, v38
	s_or_b32 vcc_lo, s0, vcc_lo
	v_med3_i32 v22, v22, 0, 13
	v_add_co_ci_u32_e32 v19, vcc_lo, 0, v19, vcc_lo
	v_cmp_ne_u32_e32 vcc_lo, 0, v6
	s_waitcnt vmcnt(4)
	v_mul_f16_sdwa v26, v24, v23 dst_sel:DWORD dst_unused:UNUSED_PAD src0_sel:DWORD src1_sel:WORD_1
	v_lshrrev_b32_e32 v27, v22, v21
	v_and_or_b32 v16, 0x8000, v17, v16
	v_cndmask_b32_e64 v6, 0, 1, vcc_lo
	v_cmp_gt_i32_e32 vcc_lo, 31, v15
	v_fmac_f16_e32 v26, v12, v23
	v_lshlrev_b32_e32 v17, v22, v27
	v_mul_f16_sdwa v12, v12, v23 dst_sel:DWORD dst_unused:UNUSED_PAD src0_sel:DWORD src1_sel:WORD_1
	v_lshl_or_b32 v6, v6, 9, 0x7c00
	v_cndmask_b32_e32 v19, 0x7c00, v19, vcc_lo
	v_cmp_eq_u32_e32 vcc_lo, 0x40f, v15
	v_cvt_f32_f16_e32 v22, v26
	v_and_or_b32 v8, 0x1ff, v9, v8
	v_and_b32_e32 v16, 0xffff, v16
	v_fma_f16 v12, v23, v24, -v12
	v_cndmask_b32_e32 v15, v19, v6, vcc_lo
	v_cmp_ne_u32_e32 vcc_lo, v17, v21
	v_lshrrev_b32_e32 v19, 16, v7
	v_cvt_f64_f32_e32 v[6:7], v22
	v_add_nc_u32_e32 v21, 0xfffffc10, v25
	v_lshrrev_b32_e32 v22, 8, v9
	v_cndmask_b32_e64 v17, 0, 1, vcc_lo
	v_cmp_ne_u32_e32 vcc_lo, 0, v8
	v_bfe_u32 v25, v9, 20, 11
	v_and_or_b32 v15, 0x8000, v19, v15
	v_lshl_or_b32 v19, v21, 12, v2
	v_or_b32_e32 v17, v27, v17
	v_cndmask_b32_e64 v8, 0, 1, vcc_lo
	v_cmp_gt_i32_e32 vcc_lo, 1, v21
	v_lshl_or_b32 v16, v15, 16, v16
	v_cvt_f32_f16_e32 v12, v12
	v_lshrrev_b32_e32 v24, 16, v3
	v_and_or_b32 v8, 0xffe, v22, v8
	v_sub_nc_u32_e32 v22, 0x3f1, v25
	v_cndmask_b32_e32 v17, v19, v17, vcc_lo
	v_add_co_u32 v10, vcc_lo, v10, s19
	v_or_b32_e32 v19, 0x1000, v8
	v_med3_i32 v22, v22, 0, 13
	v_and_b32_e32 v14, 7, v17
	v_mul_f64 v[6:7], v[6:7], s[16:17]
	v_add_co_ci_u32_e32 v11, vcc_lo, s18, v11, vcc_lo
	v_lshrrev_b32_e32 v26, v22, v19
	v_cmp_lt_i32_e32 vcc_lo, 5, v14
	v_cmp_eq_u32_e64 s0, 3, v14
	v_lshrrev_b32_e32 v17, 2, v17
	v_lshrrev_b32_e32 v9, 16, v9
	v_lshlrev_b32_e32 v15, v22, v26
	v_add_nc_u32_e32 v22, 0xfffffc10, v25
	s_or_b32 vcc_lo, s0, vcc_lo
	global_store_dword v[10:11], v16, off
	v_cmp_ne_u32_e64 s1, v15, v19
	v_cvt_f64_f32_e32 v[14:15], v12
	v_add_co_ci_u32_e32 v12, vcc_lo, 0, v17, vcc_lo
	v_cmp_ne_u32_e32 vcc_lo, 0, v2
	v_cndmask_b32_e64 v19, 0, 1, s1
	v_cndmask_b32_e64 v2, 0, 1, vcc_lo
	v_cmp_gt_i32_e32 vcc_lo, 31, v21
	v_or_b32_e32 v17, v26, v19
	v_lshl_or_b32 v19, v22, 12, v8
	v_and_or_b32 v6, 0x1ff, v7, v6
	v_lshl_or_b32 v2, v2, 9, 0x7c00
	v_cndmask_b32_e32 v12, 0x7c00, v12, vcc_lo
	v_cmp_gt_i32_e32 vcc_lo, 1, v22
	v_bfe_u32 v23, v7, 20, 11
	v_cndmask_b32_e32 v17, v19, v17, vcc_lo
	v_cmp_ne_u32_e32 vcc_lo, 0, v6
	v_lshrrev_b32_e32 v19, 8, v7
	v_cndmask_b32_e64 v6, 0, 1, vcc_lo
	v_cmp_eq_u32_e32 vcc_lo, 0x40f, v21
	v_and_b32_e32 v21, 7, v17
	v_and_or_b32 v6, 0xffe, v19, v6
	v_cndmask_b32_e32 v12, v12, v2, vcc_lo
	v_cmp_lt_i32_e32 vcc_lo, 5, v21
	v_cmp_eq_u32_e64 s0, 3, v21
	v_mul_f64 v[2:3], v[14:15], s[16:17]
	v_lshrrev_b32_e32 v14, 2, v17
	v_sub_nc_u32_e32 v19, 0x3f1, v23
	v_or_b32_e32 v15, 0x1000, v6
	s_or_b32 vcc_lo, s0, vcc_lo
	v_and_or_b32 v12, 0x8000, v24, v12
	v_add_co_ci_u32_e32 v14, vcc_lo, 0, v14, vcc_lo
	v_med3_i32 v17, v19, 0, 13
	v_cmp_ne_u32_e32 vcc_lo, 0, v8
	v_lshrrev_b32_e32 v19, 16, v13
	v_and_b32_e32 v12, 0xffff, v12
	v_lshrrev_b32_e32 v21, v17, v15
	v_cndmask_b32_e64 v8, 0, 1, vcc_lo
	v_cmp_gt_i32_e32 vcc_lo, 31, v22
	s_waitcnt vmcnt(3)
	v_mul_f16_sdwa v25, v19, v20 dst_sel:DWORD dst_unused:UNUSED_PAD src0_sel:DWORD src1_sel:WORD_1
	v_lshlrev_b32_e32 v17, v17, v21
	v_lshl_or_b32 v8, v8, 9, 0x7c00
	v_cndmask_b32_e32 v14, 0x7c00, v14, vcc_lo
	v_cmp_eq_u32_e32 vcc_lo, 0x40f, v22
	v_and_or_b32 v2, 0x1ff, v3, v2
	v_fmac_f16_e32 v25, v13, v20
	v_add_nc_u32_e32 v22, 0xfffffc10, v23
	v_lshrrev_b32_e32 v23, 8, v3
	v_cndmask_b32_e32 v8, v14, v8, vcc_lo
	v_cmp_ne_u32_e32 vcc_lo, v17, v15
	v_cvt_f32_f16_e32 v14, v25
	v_bfe_u32 v24, v3, 20, 11
	v_mul_f16_sdwa v13, v13, v20 dst_sel:DWORD dst_unused:UNUSED_PAD src0_sel:DWORD src1_sel:WORD_1
	v_and_or_b32 v8, 0x8000, v9, v8
	v_cndmask_b32_e64 v17, 0, 1, vcc_lo
	v_cmp_ne_u32_e32 vcc_lo, 0, v2
	v_cvt_f64_f32_e32 v[14:15], v14
	v_lshrrev_b32_e32 v3, 16, v3
	v_lshl_or_b32 v25, v8, 16, v12
	v_or_b32_e32 v17, v21, v17
	v_cndmask_b32_e64 v2, 0, 1, vcc_lo
	v_lshl_or_b32 v21, v22, 12, v6
	v_cmp_gt_i32_e32 vcc_lo, 1, v22
	v_fma_f16 v12, v20, v19, -v13
	v_add_nc_u32_e32 v20, 0xfffffc10, v24
	v_and_or_b32 v2, 0xffe, v23, v2
	v_sub_nc_u32_e32 v23, 0x3f1, v24
	v_cndmask_b32_e32 v17, v21, v17, vcc_lo
	v_or_b32_e32 v21, 0x1000, v2
	v_med3_i32 v9, v23, 0, 13
	v_and_b32_e32 v23, 7, v17
	v_lshrrev_b32_e32 v17, 2, v17
	v_lshrrev_b32_e32 v16, v9, v21
	v_cmp_lt_i32_e32 vcc_lo, 5, v23
	v_cmp_eq_u32_e64 s0, 3, v23
	v_lshlrev_b32_e32 v13, v9, v16
	v_mul_f64 v[8:9], v[14:15], s[16:17]
	v_add_nc_u32_e32 v14, 0x1400, v36
	v_cvt_f32_f16_e32 v15, v12
	s_or_b32 vcc_lo, s0, vcc_lo
	v_cmp_ne_u32_e64 s1, v13, v21
	v_add_co_ci_u32_e32 v17, vcc_lo, 0, v17, vcc_lo
	ds_read2_b32 v[12:13], v14 offset0:7 offset1:150
	v_add_co_u32 v10, vcc_lo, v10, s19
	v_cndmask_b32_e64 v19, 0, 1, s1
	v_add_co_ci_u32_e32 v11, vcc_lo, s18, v11, vcc_lo
	v_cmp_gt_i32_e32 vcc_lo, 1, v20
	v_cvt_f64_f32_e32 v[14:15], v15
	v_or_b32_e32 v16, v16, v19
	v_lshl_or_b32 v19, v20, 12, v2
	global_store_dword v[10:11], v25, off
	v_cndmask_b32_e32 v16, v19, v16, vcc_lo
	v_cmp_gt_i32_e32 vcc_lo, 31, v22
	v_and_or_b32 v8, 0x1ff, v9, v8
	v_lshrrev_b32_e32 v23, 8, v9
	v_bfe_u32 v24, v9, 20, 11
	v_cndmask_b32_e32 v19, 0x7c00, v17, vcc_lo
	v_cmp_ne_u32_e32 vcc_lo, 0, v6
	s_waitcnt lgkmcnt(0)
	v_lshrrev_b32_e32 v21, 16, v12
	v_and_b32_e32 v17, 7, v16
	v_lshrrev_b32_e32 v16, 2, v16
	v_cndmask_b32_e64 v6, 0, 1, vcc_lo
	v_cmp_ne_u32_e32 vcc_lo, 0, v8
	s_waitcnt vmcnt(2)
	v_mul_f16_sdwa v26, v21, v18 dst_sel:DWORD dst_unused:UNUSED_PAD src0_sel:DWORD src1_sel:WORD_1
	v_cmp_eq_u32_e64 s0, 3, v17
	v_mul_f64 v[14:15], v[14:15], s[16:17]
	v_lshl_or_b32 v6, v6, 9, 0x7c00
	v_cndmask_b32_e64 v8, 0, 1, vcc_lo
	v_cmp_lt_i32_e32 vcc_lo, 5, v17
	v_fmac_f16_e32 v26, v12, v18
	v_and_or_b32 v8, 0xffe, v23, v8
	v_sub_nc_u32_e32 v23, 0x3f1, v24
	s_or_b32 vcc_lo, s0, vcc_lo
	v_cvt_f32_f16_e32 v17, v26
	v_add_co_ci_u32_e32 v26, vcc_lo, 0, v16, vcc_lo
	v_or_b32_e32 v27, 0x1000, v8
	v_med3_i32 v23, v23, 0, 13
	v_cmp_eq_u32_e32 vcc_lo, 0x40f, v22
	v_cvt_f64_f32_e32 v[16:17], v17
	v_lshrrev_b32_e32 v22, 16, v7
	v_lshrrev_b32_e32 v28, v23, v27
	v_cndmask_b32_e32 v19, v19, v6, vcc_lo
	v_cmp_gt_i32_e32 vcc_lo, 31, v20
	v_and_or_b32 v7, 0x1ff, v15, v14
	v_add_nc_u32_e32 v14, 0xfffffc10, v24
	v_lshlrev_b32_e32 v6, v23, v28
	v_lshrrev_b32_e32 v24, 8, v15
	v_cndmask_b32_e32 v23, 0x7c00, v26, vcc_lo
	v_cmp_ne_u32_e32 vcc_lo, 0, v2
	v_bfe_u32 v26, v15, 20, 11
	v_and_or_b32 v19, 0x8000, v22, v19
	v_lshrrev_b32_e32 v15, 16, v15
	v_cndmask_b32_e64 v2, 0, 1, vcc_lo
	v_cmp_ne_u32_e32 vcc_lo, v6, v27
	v_sub_nc_u32_e32 v29, 0x3f1, v26
	v_and_b32_e32 v19, 0xffff, v19
	v_lshl_or_b32 v2, v2, 9, 0x7c00
	v_cndmask_b32_e64 v6, 0, 1, vcc_lo
	v_cmp_ne_u32_e32 vcc_lo, 0, v7
	v_or_b32_e32 v27, v28, v6
	v_cndmask_b32_e64 v7, 0, 1, vcc_lo
	v_cmp_eq_u32_e32 vcc_lo, 0x40f, v20
	v_lshl_or_b32 v28, v14, 12, v8
	v_and_or_b32 v24, 0xffe, v24, v7
	v_mul_f64 v[6:7], v[16:17], s[16:17]
	v_cndmask_b32_e32 v2, v23, v2, vcc_lo
	v_cmp_gt_i32_e32 vcc_lo, 1, v14
	v_med3_i32 v17, v29, 0, 13
	v_or_b32_e32 v16, 0x1000, v24
	v_and_or_b32 v25, 0x8000, v3, v2
	v_cndmask_b32_e32 v20, v28, v27, vcc_lo
	v_mul_f16_sdwa v2, v12, v18 dst_sel:DWORD dst_unused:UNUSED_PAD src0_sel:DWORD src1_sel:WORD_1
	v_lshrrev_b32_e32 v22, v17, v16
	v_lshl_or_b32 v19, v25, 16, v19
	v_and_b32_e32 v23, 7, v20
	v_lshrrev_b32_e32 v12, 2, v20
	v_lshlrev_b32_e32 v3, v17, v22
	v_fma_f16 v2, v18, v21, -v2
	v_cmp_lt_i32_e32 vcc_lo, 5, v23
	v_cmp_eq_u32_e64 s0, 3, v23
	v_cmp_ne_u32_e64 s1, v3, v16
	v_cvt_f32_f16_e32 v2, v2
	v_add_nc_u32_e32 v16, 0xfffffc10, v26
	v_and_or_b32 v6, 0x1ff, v7, v6
	s_or_b32 vcc_lo, s0, vcc_lo
	v_cndmask_b32_e64 v3, 0, 1, s1
	v_add_co_ci_u32_e32 v12, vcc_lo, 0, v12, vcc_lo
	v_cmp_ne_u32_e32 vcc_lo, 0, v6
	v_lshl_or_b32 v18, v16, 12, v24
	v_or_b32_e32 v17, v22, v3
	v_cvt_f64_f32_e32 v[2:3], v2
	v_lshrrev_b32_e32 v20, 8, v7
	v_cndmask_b32_e64 v6, 0, 1, vcc_lo
	v_cmp_ne_u32_e32 vcc_lo, 0, v8
	v_bfe_u32 v21, v7, 20, 11
	v_add_co_u32 v10, s1, v10, s19
	v_and_or_b32 v6, 0xffe, v20, v6
	v_cndmask_b32_e64 v8, 0, 1, vcc_lo
	v_cmp_gt_i32_e32 vcc_lo, 1, v16
	v_add_co_ci_u32_e64 v11, s1, s18, v11, s1
	v_or_b32_e32 v22, 0x1000, v6
	v_lshl_or_b32 v8, v8, 9, 0x7c00
	v_cndmask_b32_e32 v17, v18, v17, vcc_lo
	v_cmp_gt_i32_e32 vcc_lo, 31, v14
	v_sub_nc_u32_e32 v18, 0x3f1, v21
	v_add_nc_u32_e32 v21, 0xfffffc10, v21
	v_and_b32_e32 v20, 7, v17
	v_cndmask_b32_e32 v12, 0x7c00, v12, vcc_lo
	v_cmp_eq_u32_e32 vcc_lo, 0x40f, v14
	v_med3_i32 v18, v18, 0, 13
	v_lshrrev_b32_e32 v14, 16, v13
	v_cmp_eq_u32_e64 s0, 3, v20
	v_mul_f64 v[2:3], v[2:3], s[16:17]
	v_cndmask_b32_e32 v12, v12, v8, vcc_lo
	v_cmp_lt_i32_e32 vcc_lo, 5, v20
	v_lshrrev_b32_e32 v20, 16, v9
	v_lshrrev_b32_e32 v9, 2, v17
	;; [unrolled: 1-line block ×3, first 2 shown]
	s_waitcnt vmcnt(1)
	v_mul_f16_sdwa v17, v14, v5 dst_sel:DWORD dst_unused:UNUSED_PAD src0_sel:DWORD src1_sel:WORD_1
	s_or_b32 vcc_lo, s0, vcc_lo
	v_and_or_b32 v12, 0x8000, v20, v12
	v_add_co_ci_u32_e32 v9, vcc_lo, 0, v9, vcc_lo
	v_lshlrev_b32_e32 v18, v18, v8
	v_cmp_ne_u32_e32 vcc_lo, 0, v24
	v_fmac_f16_e32 v17, v13, v5
	v_and_b32_e32 v12, 0xffff, v12
	v_mul_f16_sdwa v24, v13, v5 dst_sel:DWORD dst_unused:UNUSED_PAD src0_sel:DWORD src1_sel:WORD_1
	v_cndmask_b32_e64 v23, 0, 1, vcc_lo
	v_cmp_ne_u32_e32 vcc_lo, v18, v22
	v_cvt_f32_f16_e32 v17, v17
	v_fma_f16 v5, v5, v14, -v24
	v_lshl_or_b32 v23, v23, 9, 0x7c00
	v_cndmask_b32_e64 v18, 0, 1, vcc_lo
	v_cmp_gt_i32_e32 vcc_lo, 31, v16
	v_and_or_b32 v2, 0x1ff, v3, v2
	v_cvt_f32_f16_e32 v5, v5
	v_or_b32_e32 v18, v8, v18
	v_cndmask_b32_e32 v22, 0x7c00, v9, vcc_lo
	v_cmp_eq_u32_e32 vcc_lo, 0x40f, v16
	v_cvt_f64_f32_e32 v[8:9], v17
	v_lshl_or_b32 v17, v21, 12, v6
	v_cndmask_b32_e32 v16, v22, v23, vcc_lo
	v_cmp_gt_i32_e32 vcc_lo, 1, v21
	v_bfe_u32 v22, v3, 20, 11
	v_and_or_b32 v15, 0x8000, v15, v16
	v_cndmask_b32_e32 v17, v17, v18, vcc_lo
	v_cmp_ne_u32_e32 vcc_lo, 0, v2
	v_lshrrev_b32_e32 v18, 8, v3
	v_sub_nc_u32_e32 v16, 0x3f1, v22
	v_and_b32_e32 v20, 7, v17
	v_cndmask_b32_e64 v2, 0, 1, vcc_lo
	v_lshrrev_b32_e32 v17, 2, v17
	v_med3_i32 v16, v16, 0, 13
	v_cmp_lt_i32_e32 vcc_lo, 5, v20
	v_and_or_b32 v2, 0xffe, v18, v2
	v_cmp_eq_u32_e64 s0, 3, v20
	v_mul_f64 v[8:9], v[8:9], s[16:17]
	v_lshl_or_b32 v20, v15, 16, v12
	v_or_b32_e32 v18, 0x1000, v2
	s_or_b32 vcc_lo, s0, vcc_lo
	v_add_co_ci_u32_e32 v12, vcc_lo, 0, v17, vcc_lo
	v_lshrrev_b32_e32 v15, v16, v18
	v_cmp_ne_u32_e32 vcc_lo, 0, v6
	v_add_nc_u32_e32 v17, 0x1800, v36
	v_lshlrev_b32_e32 v16, v16, v15
	v_cndmask_b32_e64 v6, 0, 1, vcc_lo
	v_cmp_gt_i32_e32 vcc_lo, 31, v21
	v_lshl_or_b32 v6, v6, 9, 0x7c00
	v_cndmask_b32_e32 v23, 0x7c00, v12, vcc_lo
	v_cmp_ne_u32_e32 vcc_lo, v16, v18
	ds_read2_b32 v[12:13], v17 offset0:37 offset1:180
	v_and_or_b32 v8, 0x1ff, v9, v8
	v_add_nc_u32_e32 v17, 0xfffffc10, v22
	v_lshrrev_b32_e32 v18, 8, v9
	v_cndmask_b32_e64 v16, 0, 1, vcc_lo
	v_cmp_eq_u32_e32 vcc_lo, 0x40f, v21
	v_bfe_u32 v21, v9, 20, 11
	v_lshrrev_b32_e32 v22, 16, v7
	v_lshrrev_b32_e32 v9, 16, v9
	v_or_b32_e32 v15, v15, v16
	v_cndmask_b32_e32 v14, v23, v6, vcc_lo
	v_cmp_ne_u32_e32 vcc_lo, 0, v8
	v_lshl_or_b32 v16, v17, 12, v2
	v_cvt_f64_f32_e32 v[5:6], v5
	v_and_or_b32 v22, 0x8000, v22, v14
	v_cndmask_b32_e64 v8, 0, 1, vcc_lo
	v_cmp_gt_i32_e32 vcc_lo, 1, v17
	v_and_b32_e32 v22, 0xffff, v22
	v_cndmask_b32_e32 v15, v16, v15, vcc_lo
	v_and_or_b32 v16, 0xffe, v18, v8
	v_sub_nc_u32_e32 v8, 0x3f1, v21
	s_waitcnt lgkmcnt(0)
	v_lshrrev_b32_e32 v18, 16, v12
	v_add_co_u32 v7, vcc_lo, v10, s19
	v_or_b32_e32 v24, 0x1000, v16
	v_med3_i32 v25, v8, 0, 13
	v_and_b32_e32 v23, 7, v15
	s_waitcnt vmcnt(0)
	v_mul_f16_sdwa v26, v18, v4 dst_sel:DWORD dst_unused:UNUSED_PAD src0_sel:DWORD src1_sel:WORD_1
	v_add_co_ci_u32_e32 v8, vcc_lo, s18, v11, vcc_lo
	v_lshrrev_b32_e32 v27, v25, v24
	v_cmp_lt_i32_e32 vcc_lo, 5, v23
	v_cmp_eq_u32_e64 s0, 3, v23
	v_fmac_f16_e32 v26, v12, v4
	v_lshrrev_b32_e32 v14, 2, v15
	v_lshlrev_b32_e32 v23, v25, v27
	v_mul_f64 v[5:6], v[5:6], s[16:17]
	s_or_b32 vcc_lo, s0, vcc_lo
	v_cvt_f32_f16_e32 v15, v26
	v_add_co_ci_u32_e32 v25, vcc_lo, 0, v14, vcc_lo
	v_cmp_ne_u32_e32 vcc_lo, v23, v24
	v_add_nc_u32_e32 v21, 0xfffffc10, v21
	v_cvt_f64_f32_e32 v[14:15], v15
	v_mul_f16_sdwa v12, v12, v4 dst_sel:DWORD dst_unused:UNUSED_PAD src0_sel:DWORD src1_sel:WORD_1
	v_cndmask_b32_e64 v23, 0, 1, vcc_lo
	v_cmp_ne_u32_e32 vcc_lo, 0, v2
	v_lshl_or_b32 v24, v21, 12, v16
	v_fma_f16 v4, v4, v18, -v12
	v_or_b32_e32 v23, v27, v23
	v_cndmask_b32_e64 v2, 0, 1, vcc_lo
	v_cmp_gt_i32_e32 vcc_lo, 31, v17
	v_cvt_f32_f16_e32 v4, v4
	v_lshl_or_b32 v2, v2, 9, 0x7c00
	v_cndmask_b32_e32 v12, 0x7c00, v25, vcc_lo
	v_cmp_gt_i32_e32 vcc_lo, 1, v21
	v_cndmask_b32_e32 v18, v24, v23, vcc_lo
	v_cmp_eq_u32_e32 vcc_lo, 0x40f, v17
	v_and_or_b32 v17, 0x1ff, v6, v5
	v_lshrrev_b32_e32 v23, 16, v3
	v_and_b32_e32 v24, 7, v18
	v_cndmask_b32_e32 v12, v12, v2, vcc_lo
	v_cvt_f64_f32_e32 v[2:3], v4
	v_mul_f64 v[4:5], v[14:15], s[16:17]
	v_cmp_ne_u32_e32 vcc_lo, 0, v17
	v_lshrrev_b32_e32 v15, 8, v6
	v_bfe_u32 v17, v6, 20, 11
	v_cmp_eq_u32_e64 s0, 3, v24
	v_lshrrev_b32_e32 v18, 2, v18
	v_cndmask_b32_e64 v14, 0, 1, vcc_lo
	v_cmp_lt_i32_e32 vcc_lo, 5, v24
	v_and_or_b32 v12, 0x8000, v23, v12
	v_lshrrev_b32_e32 v6, 16, v6
	v_and_or_b32 v14, 0xffe, v15, v14
	v_sub_nc_u32_e32 v15, 0x3f1, v17
	s_or_b32 vcc_lo, s0, vcc_lo
	v_lshl_or_b32 v12, v12, 16, v22
	v_add_co_ci_u32_e32 v18, vcc_lo, 0, v18, vcc_lo
	v_or_b32_e32 v22, 0x1000, v14
	v_med3_i32 v15, v15, 0, 13
	v_cmp_ne_u32_e32 vcc_lo, 0, v16
	v_add_nc_u32_e32 v17, 0xfffffc10, v17
	v_mul_f64 v[2:3], v[2:3], s[16:17]
	v_and_or_b32 v4, 0x1ff, v5, v4
	v_lshrrev_b32_e32 v23, v15, v22
	v_cndmask_b32_e64 v16, 0, 1, vcc_lo
	v_cmp_gt_i32_e32 vcc_lo, 31, v21
	v_lshrrev_b32_e32 v24, 8, v5
	v_bfe_u32 v25, v5, 20, 11
	v_lshlrev_b32_e32 v15, v15, v23
	v_lshl_or_b32 v16, v16, 9, 0x7c00
	v_cndmask_b32_e32 v18, 0x7c00, v18, vcc_lo
	v_cmp_ne_u32_e32 vcc_lo, 0, v4
	v_lshrrev_b32_e32 v5, 16, v5
	v_cndmask_b32_e64 v4, 0, 1, vcc_lo
	v_cmp_ne_u32_e32 vcc_lo, v15, v22
	v_sub_nc_u32_e32 v22, 0x3f1, v25
	v_and_or_b32 v4, 0xffe, v24, v4
	v_cndmask_b32_e64 v15, 0, 1, vcc_lo
	v_cmp_eq_u32_e32 vcc_lo, 0x40f, v21
	v_med3_i32 v22, v22, 0, 13
	v_and_or_b32 v2, 0x1ff, v3, v2
	v_or_b32_e32 v21, 0x1000, v4
	v_or_b32_e32 v15, v23, v15
	v_cndmask_b32_e32 v16, v18, v16, vcc_lo
	v_lshl_or_b32 v18, v17, 12, v14
	v_cmp_gt_i32_e32 vcc_lo, 1, v17
	v_lshrrev_b32_e32 v23, 8, v3
	v_bfe_u32 v24, v3, 20, 11
	v_and_or_b32 v9, 0x8000, v9, v16
	v_cndmask_b32_e32 v15, v18, v15, vcc_lo
	v_lshrrev_b32_e32 v18, v22, v21
	v_cmp_ne_u32_e32 vcc_lo, 0, v2
	v_sub_nc_u32_e32 v16, 0x3f1, v24
	v_and_b32_e32 v9, 0xffff, v9
	v_and_b32_e32 v26, 7, v15
	v_lshlrev_b32_e32 v22, v22, v18
	v_cndmask_b32_e64 v2, 0, 1, vcc_lo
	v_lshrrev_b32_e32 v15, 2, v15
	v_med3_i32 v16, v16, 0, 13
	v_cmp_lt_i32_e32 vcc_lo, 5, v26
	v_cmp_ne_u32_e64 s0, v22, v21
	v_and_or_b32 v2, 0xffe, v23, v2
	v_add_nc_u32_e32 v23, 0xfffffc10, v25
	v_cndmask_b32_e64 v21, 0, 1, s0
	v_cmp_eq_u32_e64 s0, 3, v26
	v_or_b32_e32 v22, 0x1000, v2
	v_lshl_or_b32 v25, v23, 12, v4
	v_or_b32_e32 v18, v18, v21
	s_or_b32 vcc_lo, s0, vcc_lo
	v_lshrrev_b32_e32 v21, v16, v22
	v_add_co_ci_u32_e32 v15, vcc_lo, 0, v15, vcc_lo
	v_cmp_gt_i32_e32 vcc_lo, 1, v23
	v_lshlrev_b32_e32 v16, v16, v21
	v_cndmask_b32_e32 v18, v25, v18, vcc_lo
	v_cmp_ne_u32_e32 vcc_lo, 0, v14
	v_cndmask_b32_e64 v14, 0, 1, vcc_lo
	v_cmp_ne_u32_e32 vcc_lo, v16, v22
	v_add_nc_u32_e32 v22, 0xfffffc10, v24
	v_and_b32_e32 v24, 7, v18
	v_lshl_or_b32 v14, v14, 9, 0x7c00
	v_cndmask_b32_e64 v16, 0, 1, vcc_lo
	v_cmp_gt_i32_e32 vcc_lo, 31, v17
	v_cmp_gt_i32_e64 s1, 1, v22
	v_cmp_eq_u32_e64 s0, 3, v24
	v_or_b32_e32 v16, v21, v16
	v_lshl_or_b32 v21, v22, 12, v2
	v_cndmask_b32_e32 v15, 0x7c00, v15, vcc_lo
	v_cmp_lt_i32_e32 vcc_lo, 5, v24
	v_cndmask_b32_e64 v16, v21, v16, s1
	v_cmp_eq_u32_e64 s1, 0x40f, v17
	s_or_b32 vcc_lo, s0, vcc_lo
	v_and_b32_e32 v17, 7, v16
	v_cndmask_b32_e64 v14, v15, v14, s1
	v_lshrrev_b32_e32 v15, 2, v18
	v_lshrrev_b32_e32 v16, 2, v16
	v_cmp_gt_i32_e64 s1, 31, v23
	v_cmp_eq_u32_e64 s0, 3, v17
	v_and_or_b32 v6, 0x8000, v6, v14
	v_add_co_ci_u32_e32 v15, vcc_lo, 0, v15, vcc_lo
	v_cmp_ne_u32_e32 vcc_lo, 0, v4
	v_lshrrev_b32_e32 v14, 16, v3
	v_lshl_or_b32 v6, v6, 16, v9
	v_cndmask_b32_e64 v15, 0x7c00, v15, s1
	v_cndmask_b32_e64 v4, 0, 1, vcc_lo
	v_cmp_lt_i32_e32 vcc_lo, 5, v17
	v_lshl_or_b32 v4, v4, 9, 0x7c00
	s_or_b32 vcc_lo, s0, vcc_lo
	v_add_co_ci_u32_e32 v16, vcc_lo, 0, v16, vcc_lo
	v_cmp_ne_u32_e32 vcc_lo, 0, v2
	v_cndmask_b32_e64 v2, 0, 1, vcc_lo
	v_cmp_eq_u32_e32 vcc_lo, 0x40f, v23
	v_lshl_or_b32 v2, v2, 9, 0x7c00
	v_cndmask_b32_e32 v4, v15, v4, vcc_lo
	v_cmp_gt_i32_e32 vcc_lo, 31, v22
	v_and_or_b32 v4, 0x8000, v5, v4
	v_cndmask_b32_e32 v15, 0x7c00, v16, vcc_lo
	v_cmp_eq_u32_e32 vcc_lo, 0x40f, v22
	v_cndmask_b32_e32 v5, v15, v2, vcc_lo
	v_add_co_u32 v2, vcc_lo, v7, s19
	v_add_co_ci_u32_e32 v3, vcc_lo, s18, v8, vcc_lo
	v_and_or_b32 v9, 0x8000, v14, v5
	v_and_b32_e32 v14, 0xffff, v4
	v_add_co_u32 v4, vcc_lo, v2, s19
	v_add_co_ci_u32_e32 v5, vcc_lo, s18, v3, vcc_lo
	v_lshl_or_b32 v9, v9, 16, v14
	v_add_co_u32 v14, vcc_lo, v4, s19
	v_add_co_ci_u32_e32 v15, vcc_lo, s18, v5, vcc_lo
	global_store_dword v[10:11], v19, off
	global_store_dword v[7:8], v20, off
	;; [unrolled: 1-line block ×5, first 2 shown]
	global_load_dword v0, v[0:1], off offset:720
	v_lshrrev_b32_e32 v1, 16, v13
	s_waitcnt vmcnt(0)
	v_mul_f16_sdwa v2, v1, v0 dst_sel:DWORD dst_unused:UNUSED_PAD src0_sel:DWORD src1_sel:WORD_1
	v_mul_f16_sdwa v3, v13, v0 dst_sel:DWORD dst_unused:UNUSED_PAD src0_sel:DWORD src1_sel:WORD_1
	v_fmac_f16_e32 v2, v13, v0
	v_fma_f16 v0, v0, v1, -v3
	v_cvt_f32_f16_e32 v1, v2
	v_cvt_f32_f16_e32 v2, v0
	v_cvt_f64_f32_e32 v[0:1], v1
	v_cvt_f64_f32_e32 v[2:3], v2
	v_mul_f64 v[0:1], v[0:1], s[16:17]
	v_mul_f64 v[2:3], v[2:3], s[16:17]
	v_and_or_b32 v0, 0x1ff, v1, v0
	v_and_or_b32 v2, 0x1ff, v3, v2
	v_lshrrev_b32_e32 v4, 8, v1
	v_bfe_u32 v5, v1, 20, 11
	v_lshrrev_b32_e32 v6, 8, v3
	v_cmp_ne_u32_e32 vcc_lo, 0, v0
	v_bfe_u32 v7, v3, 20, 11
	v_lshrrev_b32_e32 v1, 16, v1
	v_lshrrev_b32_e32 v3, 16, v3
	v_cndmask_b32_e64 v0, 0, 1, vcc_lo
	v_cmp_ne_u32_e32 vcc_lo, 0, v2
	v_and_or_b32 v0, 0xffe, v4, v0
	v_cndmask_b32_e64 v2, 0, 1, vcc_lo
	v_sub_nc_u32_e32 v4, 0x3f1, v5
	v_add_nc_u32_e32 v5, 0xfffffc10, v5
	v_or_b32_e32 v8, 0x1000, v0
	v_and_or_b32 v2, 0xffe, v6, v2
	v_sub_nc_u32_e32 v6, 0x3f1, v7
	v_med3_i32 v4, v4, 0, 13
	v_add_nc_u32_e32 v7, 0xfffffc10, v7
	v_or_b32_e32 v9, 0x1000, v2
	v_med3_i32 v6, v6, 0, 13
	v_lshrrev_b32_e32 v10, v4, v8
	v_lshrrev_b32_e32 v11, v6, v9
	v_lshlrev_b32_e32 v4, v4, v10
	v_lshlrev_b32_e32 v6, v6, v11
	v_cmp_ne_u32_e32 vcc_lo, v4, v8
	v_lshl_or_b32 v8, v5, 12, v0
	v_cndmask_b32_e64 v4, 0, 1, vcc_lo
	v_cmp_ne_u32_e32 vcc_lo, v6, v9
	v_lshl_or_b32 v9, v7, 12, v2
	v_or_b32_e32 v4, v10, v4
	v_cndmask_b32_e64 v6, 0, 1, vcc_lo
	v_cmp_gt_i32_e32 vcc_lo, 1, v5
	v_or_b32_e32 v6, v11, v6
	v_cndmask_b32_e32 v4, v8, v4, vcc_lo
	v_cmp_gt_i32_e32 vcc_lo, 1, v7
	v_and_b32_e32 v8, 7, v4
	v_cndmask_b32_e32 v6, v9, v6, vcc_lo
	v_lshrrev_b32_e32 v4, 2, v4
	v_cmp_lt_i32_e32 vcc_lo, 5, v8
	v_cmp_eq_u32_e64 s0, 3, v8
	v_and_b32_e32 v9, 7, v6
	v_lshrrev_b32_e32 v6, 2, v6
	s_or_b32 vcc_lo, s0, vcc_lo
	v_cmp_lt_i32_e64 s1, 5, v9
	v_add_co_ci_u32_e32 v4, vcc_lo, 0, v4, vcc_lo
	v_cmp_eq_u32_e64 s2, 3, v9
	v_cmp_ne_u32_e32 vcc_lo, 0, v0
	v_cndmask_b32_e64 v0, 0, 1, vcc_lo
	s_or_b32 vcc_lo, s2, s1
	v_add_co_ci_u32_e32 v6, vcc_lo, 0, v6, vcc_lo
	v_cmp_ne_u32_e32 vcc_lo, 0, v2
	v_lshl_or_b32 v0, v0, 9, 0x7c00
	v_cndmask_b32_e64 v2, 0, 1, vcc_lo
	v_cmp_gt_i32_e32 vcc_lo, 31, v5
	v_lshl_or_b32 v2, v2, 9, 0x7c00
	v_cndmask_b32_e32 v4, 0x7c00, v4, vcc_lo
	v_cmp_gt_i32_e32 vcc_lo, 31, v7
	v_cndmask_b32_e32 v6, 0x7c00, v6, vcc_lo
	v_cmp_eq_u32_e32 vcc_lo, 0x40f, v5
	v_cndmask_b32_e32 v0, v4, v0, vcc_lo
	v_cmp_eq_u32_e32 vcc_lo, 0x40f, v7
	v_and_or_b32 v0, 0x8000, v1, v0
	v_cndmask_b32_e32 v2, v6, v2, vcc_lo
	v_and_b32_e32 v0, 0xffff, v0
	v_and_or_b32 v1, 0x8000, v3, v2
	v_lshl_or_b32 v2, v1, 16, v0
	v_add_co_u32 v0, vcc_lo, v14, s19
	v_add_co_ci_u32_e32 v1, vcc_lo, s18, v15, vcc_lo
	global_store_dword v[0:1], v2, off
.LBB0_23:
	s_endpgm
	.section	.rodata,"a",@progbits
	.p2align	6, 0x0
	.amdhsa_kernel bluestein_single_back_len1859_dim1_half_op_CI_CI
		.amdhsa_group_segment_fixed_size 7436
		.amdhsa_private_segment_fixed_size 0
		.amdhsa_kernarg_size 104
		.amdhsa_user_sgpr_count 6
		.amdhsa_user_sgpr_private_segment_buffer 1
		.amdhsa_user_sgpr_dispatch_ptr 0
		.amdhsa_user_sgpr_queue_ptr 0
		.amdhsa_user_sgpr_kernarg_segment_ptr 1
		.amdhsa_user_sgpr_dispatch_id 0
		.amdhsa_user_sgpr_flat_scratch_init 0
		.amdhsa_user_sgpr_private_segment_size 0
		.amdhsa_wavefront_size32 1
		.amdhsa_uses_dynamic_stack 0
		.amdhsa_system_sgpr_private_segment_wavefront_offset 0
		.amdhsa_system_sgpr_workgroup_id_x 1
		.amdhsa_system_sgpr_workgroup_id_y 0
		.amdhsa_system_sgpr_workgroup_id_z 0
		.amdhsa_system_sgpr_workgroup_info 0
		.amdhsa_system_vgpr_workitem_id 0
		.amdhsa_next_free_vgpr 177
		.amdhsa_next_free_sgpr 20
		.amdhsa_reserve_vcc 1
		.amdhsa_reserve_flat_scratch 0
		.amdhsa_float_round_mode_32 0
		.amdhsa_float_round_mode_16_64 0
		.amdhsa_float_denorm_mode_32 3
		.amdhsa_float_denorm_mode_16_64 3
		.amdhsa_dx10_clamp 1
		.amdhsa_ieee_mode 1
		.amdhsa_fp16_overflow 0
		.amdhsa_workgroup_processor_mode 1
		.amdhsa_memory_ordered 1
		.amdhsa_forward_progress 0
		.amdhsa_shared_vgpr_count 0
		.amdhsa_exception_fp_ieee_invalid_op 0
		.amdhsa_exception_fp_denorm_src 0
		.amdhsa_exception_fp_ieee_div_zero 0
		.amdhsa_exception_fp_ieee_overflow 0
		.amdhsa_exception_fp_ieee_underflow 0
		.amdhsa_exception_fp_ieee_inexact 0
		.amdhsa_exception_int_div_zero 0
	.end_amdhsa_kernel
	.text
.Lfunc_end0:
	.size	bluestein_single_back_len1859_dim1_half_op_CI_CI, .Lfunc_end0-bluestein_single_back_len1859_dim1_half_op_CI_CI
                                        ; -- End function
	.section	.AMDGPU.csdata,"",@progbits
; Kernel info:
; codeLenInByte = 28788
; NumSgprs: 22
; NumVgprs: 177
; ScratchSize: 0
; MemoryBound: 0
; FloatMode: 240
; IeeeMode: 1
; LDSByteSize: 7436 bytes/workgroup (compile time only)
; SGPRBlocks: 2
; VGPRBlocks: 22
; NumSGPRsForWavesPerEU: 22
; NumVGPRsForWavesPerEU: 177
; Occupancy: 5
; WaveLimiterHint : 1
; COMPUTE_PGM_RSRC2:SCRATCH_EN: 0
; COMPUTE_PGM_RSRC2:USER_SGPR: 6
; COMPUTE_PGM_RSRC2:TRAP_HANDLER: 0
; COMPUTE_PGM_RSRC2:TGID_X_EN: 1
; COMPUTE_PGM_RSRC2:TGID_Y_EN: 0
; COMPUTE_PGM_RSRC2:TGID_Z_EN: 0
; COMPUTE_PGM_RSRC2:TIDIG_COMP_CNT: 0
	.text
	.p2alignl 6, 3214868480
	.fill 48, 4, 3214868480
	.type	__hip_cuid_f9b4b1f1c2f2c903,@object ; @__hip_cuid_f9b4b1f1c2f2c903
	.section	.bss,"aw",@nobits
	.globl	__hip_cuid_f9b4b1f1c2f2c903
__hip_cuid_f9b4b1f1c2f2c903:
	.byte	0                               ; 0x0
	.size	__hip_cuid_f9b4b1f1c2f2c903, 1

	.ident	"AMD clang version 19.0.0git (https://github.com/RadeonOpenCompute/llvm-project roc-6.4.0 25133 c7fe45cf4b819c5991fe208aaa96edf142730f1d)"
	.section	".note.GNU-stack","",@progbits
	.addrsig
	.addrsig_sym __hip_cuid_f9b4b1f1c2f2c903
	.amdgpu_metadata
---
amdhsa.kernels:
  - .args:
      - .actual_access:  read_only
        .address_space:  global
        .offset:         0
        .size:           8
        .value_kind:     global_buffer
      - .actual_access:  read_only
        .address_space:  global
        .offset:         8
        .size:           8
        .value_kind:     global_buffer
      - .actual_access:  read_only
        .address_space:  global
        .offset:         16
        .size:           8
        .value_kind:     global_buffer
      - .actual_access:  read_only
        .address_space:  global
        .offset:         24
        .size:           8
        .value_kind:     global_buffer
      - .actual_access:  read_only
        .address_space:  global
        .offset:         32
        .size:           8
        .value_kind:     global_buffer
      - .offset:         40
        .size:           8
        .value_kind:     by_value
      - .address_space:  global
        .offset:         48
        .size:           8
        .value_kind:     global_buffer
      - .address_space:  global
        .offset:         56
        .size:           8
        .value_kind:     global_buffer
      - .address_space:  global
        .offset:         64
        .size:           8
        .value_kind:     global_buffer
      - .address_space:  global
        .offset:         72
        .size:           8
        .value_kind:     global_buffer
      - .offset:         80
        .size:           4
        .value_kind:     by_value
      - .address_space:  global
        .offset:         88
        .size:           8
        .value_kind:     global_buffer
      - .address_space:  global
        .offset:         96
        .size:           8
        .value_kind:     global_buffer
    .group_segment_fixed_size: 7436
    .kernarg_segment_align: 8
    .kernarg_segment_size: 104
    .language:       OpenCL C
    .language_version:
      - 2
      - 0
    .max_flat_workgroup_size: 169
    .name:           bluestein_single_back_len1859_dim1_half_op_CI_CI
    .private_segment_fixed_size: 0
    .sgpr_count:     22
    .sgpr_spill_count: 0
    .symbol:         bluestein_single_back_len1859_dim1_half_op_CI_CI.kd
    .uniform_work_group_size: 1
    .uses_dynamic_stack: false
    .vgpr_count:     177
    .vgpr_spill_count: 0
    .wavefront_size: 32
    .workgroup_processor_mode: 1
amdhsa.target:   amdgcn-amd-amdhsa--gfx1030
amdhsa.version:
  - 1
  - 2
...

	.end_amdgpu_metadata
